;; amdgpu-corpus repo=ROCm/rocFFT kind=compiled arch=gfx1201 opt=O3
	.text
	.amdgcn_target "amdgcn-amd-amdhsa--gfx1201"
	.amdhsa_code_object_version 6
	.protected	fft_rtc_back_len578_factors_17_17_2_wgs_238_tpt_34_halfLds_dp_op_CI_CI_unitstride_sbrr_dirReg ; -- Begin function fft_rtc_back_len578_factors_17_17_2_wgs_238_tpt_34_halfLds_dp_op_CI_CI_unitstride_sbrr_dirReg
	.globl	fft_rtc_back_len578_factors_17_17_2_wgs_238_tpt_34_halfLds_dp_op_CI_CI_unitstride_sbrr_dirReg
	.p2align	8
	.type	fft_rtc_back_len578_factors_17_17_2_wgs_238_tpt_34_halfLds_dp_op_CI_CI_unitstride_sbrr_dirReg,@function
fft_rtc_back_len578_factors_17_17_2_wgs_238_tpt_34_halfLds_dp_op_CI_CI_unitstride_sbrr_dirReg: ; @fft_rtc_back_len578_factors_17_17_2_wgs_238_tpt_34_halfLds_dp_op_CI_CI_unitstride_sbrr_dirReg
; %bb.0:
	s_load_b128 s[4:7], s[0:1], 0x0
	v_mul_u32_u24_e32 v1, 0x788, v0
	s_clause 0x1
	s_load_b128 s[8:11], s[0:1], 0x58
	s_load_b128 s[12:15], s[0:1], 0x18
	v_mov_b32_e32 v4, 0
	v_lshrrev_b32_e32 v2, 16, v1
	v_mov_b32_e32 v1, 0
	s_delay_alu instid0(VALU_DEP_2) | instskip(NEXT) | instid1(VALU_DEP_2)
	v_mad_co_u64_u32 v[74:75], null, ttmp9, 7, v[2:3]
	v_mov_b32_e32 v75, v1
	s_delay_alu instid0(VALU_DEP_2) | instskip(SKIP_2) | instid1(VALU_DEP_2)
	v_dual_mov_b32 v5, 0 :: v_dual_mov_b32 v72, v74
	s_wait_kmcnt 0x0
	v_cmp_lt_u64_e64 s2, s[6:7], 2
	v_dual_mov_b32 v71, v5 :: v_dual_mov_b32 v70, v4
	v_mov_b32_e32 v73, v75
	s_delay_alu instid0(VALU_DEP_3)
	s_and_b32 vcc_lo, exec_lo, s2
	s_cbranch_vccnz .LBB0_8
; %bb.1:
	s_load_b64 s[2:3], s[0:1], 0x10
	v_mov_b32_e32 v4, 0
	v_dual_mov_b32 v5, 0 :: v_dual_mov_b32 v6, v74
	v_mov_b32_e32 v7, v75
	s_add_nc_u64 s[16:17], s[14:15], 8
	s_add_nc_u64 s[18:19], s[12:13], 8
	s_delay_alu instid0(VALU_DEP_2)
	v_dual_mov_b32 v71, v5 :: v_dual_mov_b32 v70, v4
	s_mov_b64 s[20:21], 1
	s_wait_kmcnt 0x0
	s_add_nc_u64 s[22:23], s[2:3], 8
	s_mov_b32 s3, 0
.LBB0_2:                                ; =>This Inner Loop Header: Depth=1
	s_load_b64 s[24:25], s[22:23], 0x0
                                        ; implicit-def: $vgpr72_vgpr73
	s_mov_b32 s2, exec_lo
	s_wait_kmcnt 0x0
	v_or_b32_e32 v2, s25, v7
	s_delay_alu instid0(VALU_DEP_1)
	v_cmpx_ne_u64_e32 0, v[1:2]
	s_wait_alu 0xfffe
	s_xor_b32 s26, exec_lo, s2
	s_cbranch_execz .LBB0_4
; %bb.3:                                ;   in Loop: Header=BB0_2 Depth=1
	s_cvt_f32_u32 s2, s24
	s_cvt_f32_u32 s27, s25
	s_sub_nc_u64 s[30:31], 0, s[24:25]
	s_wait_alu 0xfffe
	s_delay_alu instid0(SALU_CYCLE_1) | instskip(SKIP_1) | instid1(SALU_CYCLE_2)
	s_fmamk_f32 s2, s27, 0x4f800000, s2
	s_wait_alu 0xfffe
	v_s_rcp_f32 s2, s2
	s_delay_alu instid0(TRANS32_DEP_1) | instskip(SKIP_1) | instid1(SALU_CYCLE_2)
	s_mul_f32 s2, s2, 0x5f7ffffc
	s_wait_alu 0xfffe
	s_mul_f32 s27, s2, 0x2f800000
	s_wait_alu 0xfffe
	s_delay_alu instid0(SALU_CYCLE_2) | instskip(SKIP_1) | instid1(SALU_CYCLE_2)
	s_trunc_f32 s27, s27
	s_wait_alu 0xfffe
	s_fmamk_f32 s2, s27, 0xcf800000, s2
	s_cvt_u32_f32 s29, s27
	s_wait_alu 0xfffe
	s_delay_alu instid0(SALU_CYCLE_1) | instskip(SKIP_1) | instid1(SALU_CYCLE_2)
	s_cvt_u32_f32 s28, s2
	s_wait_alu 0xfffe
	s_mul_u64 s[34:35], s[30:31], s[28:29]
	s_wait_alu 0xfffe
	s_mul_hi_u32 s37, s28, s35
	s_mul_i32 s36, s28, s35
	s_mul_hi_u32 s2, s28, s34
	s_mul_i32 s33, s29, s34
	s_wait_alu 0xfffe
	s_add_nc_u64 s[36:37], s[2:3], s[36:37]
	s_mul_hi_u32 s27, s29, s34
	s_mul_hi_u32 s38, s29, s35
	s_add_co_u32 s2, s36, s33
	s_wait_alu 0xfffe
	s_add_co_ci_u32 s2, s37, s27
	s_mul_i32 s34, s29, s35
	s_add_co_ci_u32 s35, s38, 0
	s_wait_alu 0xfffe
	s_add_nc_u64 s[34:35], s[2:3], s[34:35]
	s_wait_alu 0xfffe
	v_add_co_u32 v2, s2, s28, s34
	s_delay_alu instid0(VALU_DEP_1) | instskip(SKIP_1) | instid1(VALU_DEP_1)
	s_cmp_lg_u32 s2, 0
	s_add_co_ci_u32 s29, s29, s35
	v_readfirstlane_b32 s28, v2
	s_wait_alu 0xfffe
	s_delay_alu instid0(VALU_DEP_1)
	s_mul_u64 s[30:31], s[30:31], s[28:29]
	s_wait_alu 0xfffe
	s_mul_hi_u32 s35, s28, s31
	s_mul_i32 s34, s28, s31
	s_mul_hi_u32 s2, s28, s30
	s_mul_i32 s33, s29, s30
	s_wait_alu 0xfffe
	s_add_nc_u64 s[34:35], s[2:3], s[34:35]
	s_mul_hi_u32 s27, s29, s30
	s_mul_hi_u32 s28, s29, s31
	s_wait_alu 0xfffe
	s_add_co_u32 s2, s34, s33
	s_add_co_ci_u32 s2, s35, s27
	s_mul_i32 s30, s29, s31
	s_add_co_ci_u32 s31, s28, 0
	s_wait_alu 0xfffe
	s_add_nc_u64 s[30:31], s[2:3], s[30:31]
	s_wait_alu 0xfffe
	v_add_co_u32 v8, s2, v2, s30
	s_delay_alu instid0(VALU_DEP_1) | instskip(SKIP_1) | instid1(VALU_DEP_1)
	s_cmp_lg_u32 s2, 0
	s_add_co_ci_u32 s2, s29, s31
	v_mul_hi_u32 v12, v6, v8
	s_wait_alu 0xfffe
	v_mad_co_u64_u32 v[2:3], null, v6, s2, 0
	v_mad_co_u64_u32 v[8:9], null, v7, v8, 0
	;; [unrolled: 1-line block ×3, first 2 shown]
	s_delay_alu instid0(VALU_DEP_3) | instskip(SKIP_1) | instid1(VALU_DEP_4)
	v_add_co_u32 v2, vcc_lo, v12, v2
	s_wait_alu 0xfffd
	v_add_co_ci_u32_e32 v3, vcc_lo, 0, v3, vcc_lo
	s_delay_alu instid0(VALU_DEP_2) | instskip(SKIP_1) | instid1(VALU_DEP_2)
	v_add_co_u32 v2, vcc_lo, v2, v8
	s_wait_alu 0xfffd
	v_add_co_ci_u32_e32 v2, vcc_lo, v3, v9, vcc_lo
	s_wait_alu 0xfffd
	v_add_co_ci_u32_e32 v3, vcc_lo, 0, v11, vcc_lo
	s_delay_alu instid0(VALU_DEP_2) | instskip(SKIP_1) | instid1(VALU_DEP_2)
	v_add_co_u32 v8, vcc_lo, v2, v10
	s_wait_alu 0xfffd
	v_add_co_ci_u32_e32 v9, vcc_lo, 0, v3, vcc_lo
	s_delay_alu instid0(VALU_DEP_2) | instskip(SKIP_1) | instid1(VALU_DEP_3)
	v_mul_lo_u32 v10, s25, v8
	v_mad_co_u64_u32 v[2:3], null, s24, v8, 0
	v_mul_lo_u32 v11, s24, v9
	s_delay_alu instid0(VALU_DEP_2) | instskip(NEXT) | instid1(VALU_DEP_2)
	v_sub_co_u32 v2, vcc_lo, v6, v2
	v_add3_u32 v3, v3, v11, v10
	s_delay_alu instid0(VALU_DEP_1) | instskip(SKIP_1) | instid1(VALU_DEP_1)
	v_sub_nc_u32_e32 v10, v7, v3
	s_wait_alu 0xfffd
	v_subrev_co_ci_u32_e64 v10, s2, s25, v10, vcc_lo
	v_add_co_u32 v11, s2, v8, 2
	s_wait_alu 0xf1ff
	v_add_co_ci_u32_e64 v12, s2, 0, v9, s2
	v_sub_co_u32 v13, s2, v2, s24
	v_sub_co_ci_u32_e32 v3, vcc_lo, v7, v3, vcc_lo
	s_wait_alu 0xf1ff
	v_subrev_co_ci_u32_e64 v10, s2, 0, v10, s2
	s_delay_alu instid0(VALU_DEP_3) | instskip(NEXT) | instid1(VALU_DEP_3)
	v_cmp_le_u32_e32 vcc_lo, s24, v13
	v_cmp_eq_u32_e64 s2, s25, v3
	s_wait_alu 0xfffd
	v_cndmask_b32_e64 v13, 0, -1, vcc_lo
	v_cmp_le_u32_e32 vcc_lo, s25, v10
	s_wait_alu 0xfffd
	v_cndmask_b32_e64 v14, 0, -1, vcc_lo
	v_cmp_le_u32_e32 vcc_lo, s24, v2
	;; [unrolled: 3-line block ×3, first 2 shown]
	s_wait_alu 0xfffd
	v_cndmask_b32_e64 v15, 0, -1, vcc_lo
	v_cmp_eq_u32_e32 vcc_lo, s25, v10
	s_wait_alu 0xf1ff
	s_delay_alu instid0(VALU_DEP_2)
	v_cndmask_b32_e64 v2, v15, v2, s2
	s_wait_alu 0xfffd
	v_cndmask_b32_e32 v10, v14, v13, vcc_lo
	v_add_co_u32 v13, vcc_lo, v8, 1
	s_wait_alu 0xfffd
	v_add_co_ci_u32_e32 v14, vcc_lo, 0, v9, vcc_lo
	s_delay_alu instid0(VALU_DEP_3) | instskip(SKIP_1) | instid1(VALU_DEP_2)
	v_cmp_ne_u32_e32 vcc_lo, 0, v10
	s_wait_alu 0xfffd
	v_dual_cndmask_b32 v3, v14, v12 :: v_dual_cndmask_b32 v10, v13, v11
	v_cmp_ne_u32_e32 vcc_lo, 0, v2
	s_wait_alu 0xfffd
	s_delay_alu instid0(VALU_DEP_2)
	v_dual_cndmask_b32 v73, v9, v3 :: v_dual_cndmask_b32 v72, v8, v10
.LBB0_4:                                ;   in Loop: Header=BB0_2 Depth=1
	s_wait_alu 0xfffe
	s_and_not1_saveexec_b32 s2, s26
	s_cbranch_execz .LBB0_6
; %bb.5:                                ;   in Loop: Header=BB0_2 Depth=1
	v_cvt_f32_u32_e32 v2, s24
	s_sub_co_i32 s26, 0, s24
	v_mov_b32_e32 v73, v1
	s_delay_alu instid0(VALU_DEP_2) | instskip(NEXT) | instid1(TRANS32_DEP_1)
	v_rcp_iflag_f32_e32 v2, v2
	v_mul_f32_e32 v2, 0x4f7ffffe, v2
	s_delay_alu instid0(VALU_DEP_1) | instskip(SKIP_1) | instid1(VALU_DEP_1)
	v_cvt_u32_f32_e32 v2, v2
	s_wait_alu 0xfffe
	v_mul_lo_u32 v3, s26, v2
	s_delay_alu instid0(VALU_DEP_1) | instskip(NEXT) | instid1(VALU_DEP_1)
	v_mul_hi_u32 v3, v2, v3
	v_add_nc_u32_e32 v2, v2, v3
	s_delay_alu instid0(VALU_DEP_1) | instskip(NEXT) | instid1(VALU_DEP_1)
	v_mul_hi_u32 v2, v6, v2
	v_mul_lo_u32 v3, v2, s24
	v_add_nc_u32_e32 v8, 1, v2
	s_delay_alu instid0(VALU_DEP_2) | instskip(NEXT) | instid1(VALU_DEP_1)
	v_sub_nc_u32_e32 v3, v6, v3
	v_subrev_nc_u32_e32 v9, s24, v3
	v_cmp_le_u32_e32 vcc_lo, s24, v3
	s_wait_alu 0xfffd
	s_delay_alu instid0(VALU_DEP_2) | instskip(NEXT) | instid1(VALU_DEP_1)
	v_dual_cndmask_b32 v3, v3, v9 :: v_dual_cndmask_b32 v2, v2, v8
	v_cmp_le_u32_e32 vcc_lo, s24, v3
	s_delay_alu instid0(VALU_DEP_2) | instskip(SKIP_1) | instid1(VALU_DEP_1)
	v_add_nc_u32_e32 v8, 1, v2
	s_wait_alu 0xfffd
	v_cndmask_b32_e32 v72, v2, v8, vcc_lo
.LBB0_6:                                ;   in Loop: Header=BB0_2 Depth=1
	s_wait_alu 0xfffe
	s_or_b32 exec_lo, exec_lo, s2
	v_mul_lo_u32 v8, v73, s24
	s_delay_alu instid0(VALU_DEP_2)
	v_mul_lo_u32 v9, v72, s25
	s_load_b64 s[26:27], s[18:19], 0x0
	v_mad_co_u64_u32 v[2:3], null, v72, s24, 0
	s_load_b64 s[24:25], s[16:17], 0x0
	s_add_nc_u64 s[20:21], s[20:21], 1
	s_add_nc_u64 s[16:17], s[16:17], 8
	s_wait_alu 0xfffe
	v_cmp_ge_u64_e64 s2, s[20:21], s[6:7]
	s_add_nc_u64 s[18:19], s[18:19], 8
	s_add_nc_u64 s[22:23], s[22:23], 8
	v_add3_u32 v3, v3, v9, v8
	v_sub_co_u32 v2, vcc_lo, v6, v2
	s_wait_alu 0xfffd
	s_delay_alu instid0(VALU_DEP_2) | instskip(SKIP_2) | instid1(VALU_DEP_1)
	v_sub_co_ci_u32_e32 v3, vcc_lo, v7, v3, vcc_lo
	s_and_b32 vcc_lo, exec_lo, s2
	s_wait_kmcnt 0x0
	v_mul_lo_u32 v6, s26, v3
	v_mul_lo_u32 v7, s27, v2
	v_mad_co_u64_u32 v[4:5], null, s26, v2, v[4:5]
	v_mul_lo_u32 v3, s24, v3
	v_mul_lo_u32 v8, s25, v2
	v_mad_co_u64_u32 v[70:71], null, s24, v2, v[70:71]
	s_delay_alu instid0(VALU_DEP_4) | instskip(NEXT) | instid1(VALU_DEP_2)
	v_add3_u32 v5, v7, v5, v6
	v_add3_u32 v71, v8, v71, v3
	s_wait_alu 0xfffe
	s_cbranch_vccnz .LBB0_8
; %bb.7:                                ;   in Loop: Header=BB0_2 Depth=1
	v_dual_mov_b32 v6, v72 :: v_dual_mov_b32 v7, v73
	s_branch .LBB0_2
.LBB0_8:
	s_load_b64 s[0:1], s[0:1], 0x28
	v_mul_hi_u32 v1, 0x7878788, v0
	s_lshl_b64 s[2:3], s[6:7], 3
                                        ; implicit-def: $vgpr68
	s_wait_kmcnt 0x0
	v_cmp_gt_u64_e32 vcc_lo, s[0:1], v[72:73]
	v_cmp_le_u64_e64 s0, s[0:1], v[72:73]
	s_delay_alu instid0(VALU_DEP_1)
	s_and_saveexec_b32 s1, s0
	s_wait_alu 0xfffe
	s_xor_b32 s0, exec_lo, s1
; %bb.9:
	v_mul_u32_u24_e32 v1, 34, v1
                                        ; implicit-def: $vgpr4_vgpr5
	s_delay_alu instid0(VALU_DEP_1)
	v_sub_nc_u32_e32 v68, v0, v1
                                        ; implicit-def: $vgpr1
                                        ; implicit-def: $vgpr0
; %bb.10:
	s_wait_alu 0xfffe
	s_or_saveexec_b32 s1, s0
	s_add_nc_u64 s[40:41], s[14:15], s[2:3]
                                        ; implicit-def: $vgpr6_vgpr7
                                        ; implicit-def: $vgpr14_vgpr15
                                        ; implicit-def: $vgpr18_vgpr19
                                        ; implicit-def: $vgpr26_vgpr27
                                        ; implicit-def: $vgpr42_vgpr43
                                        ; implicit-def: $vgpr66_vgpr67
                                        ; implicit-def: $vgpr62_vgpr63
                                        ; implicit-def: $vgpr58_vgpr59
                                        ; implicit-def: $vgpr54_vgpr55
                                        ; implicit-def: $vgpr50_vgpr51
                                        ; implicit-def: $vgpr46_vgpr47
                                        ; implicit-def: $vgpr38_vgpr39
                                        ; implicit-def: $vgpr22_vgpr23
                                        ; implicit-def: $vgpr10_vgpr11
                                        ; implicit-def: $vgpr2_vgpr3
                                        ; implicit-def: $vgpr34_vgpr35
                                        ; implicit-def: $vgpr30_vgpr31
                                        ; implicit-def: $vgpr139
	s_wait_alu 0xfffe
	s_xor_b32 exec_lo, exec_lo, s1
	s_cbranch_execz .LBB0_12
; %bb.11:
	s_add_nc_u64 s[2:3], s[12:13], s[2:3]
	s_load_b64 s[2:3], s[2:3], 0x0
	s_wait_kmcnt 0x0
	v_mul_lo_u32 v6, s3, v72
	v_mul_lo_u32 v7, s2, v73
	v_mad_co_u64_u32 v[2:3], null, s2, v72, 0
	s_delay_alu instid0(VALU_DEP_1) | instskip(SKIP_1) | instid1(VALU_DEP_2)
	v_add3_u32 v3, v3, v7, v6
	v_mul_u32_u24_e32 v6, 34, v1
	v_lshlrev_b64_e32 v[1:2], 4, v[2:3]
	v_lshlrev_b64_e32 v[3:4], 4, v[4:5]
	s_delay_alu instid0(VALU_DEP_3) | instskip(NEXT) | instid1(VALU_DEP_3)
	v_sub_nc_u32_e32 v68, v0, v6
	v_add_co_u32 v0, s0, s8, v1
	s_wait_alu 0xf1ff
	s_delay_alu instid0(VALU_DEP_4) | instskip(NEXT) | instid1(VALU_DEP_3)
	v_add_co_ci_u32_e64 v1, s0, s9, v2, s0
	v_dual_mov_b32 v139, v68 :: v_dual_lshlrev_b32 v2, 4, v68
	s_delay_alu instid0(VALU_DEP_3) | instskip(SKIP_1) | instid1(VALU_DEP_3)
	v_add_co_u32 v0, s0, v0, v3
	s_wait_alu 0xf1ff
	v_add_co_ci_u32_e64 v1, s0, v1, v4, s0
	s_delay_alu instid0(VALU_DEP_2) | instskip(SKIP_1) | instid1(VALU_DEP_2)
	v_add_co_u32 v4, s0, v0, v2
	s_wait_alu 0xf1ff
	v_add_co_ci_u32_e64 v5, s0, 0, v1, s0
	s_clause 0x10
	global_load_b128 v[28:31], v[4:5], off
	global_load_b128 v[32:35], v[4:5], off offset:544
	global_load_b128 v[0:3], v[4:5], off offset:1088
	;; [unrolled: 1-line block ×16, first 2 shown]
.LBB0_12:
	s_or_b32 exec_lo, exec_lo, s1
	s_wait_loadcnt 0xf
	v_add_f64_e32 v[75:76], v[32:33], v[28:29]
	v_add_f64_e32 v[77:78], v[34:35], v[30:31]
	s_wait_loadcnt 0x7
	v_add_f64_e32 v[79:80], v[56:57], v[52:53]
	v_add_f64_e64 v[85:86], v[54:55], -v[58:59]
	s_wait_loadcnt 0x6
	v_add_f64_e64 v[87:88], v[50:51], -v[62:63]
	s_wait_loadcnt 0x5
	;; [unrolled: 2-line block ×3, first 2 shown]
	v_add_f64_e32 v[95:96], v[40:41], v[36:37]
	v_add_f64_e64 v[97:98], v[38:39], -v[42:43]
	s_mov_b32 s16, 0x5d8e7cdc
	s_mov_b32 s12, 0x2a9d6da3
	;; [unrolled: 1-line block ×30, first 2 shown]
	v_add_f64_e32 v[75:76], v[0:1], v[75:76]
	v_add_f64_e32 v[77:78], v[2:3], v[77:78]
	s_mov_b32 s37, 0xbfeb34fa
	s_mov_b32 s39, 0xbfef7484
	;; [unrolled: 1-line block ×5, first 2 shown]
	s_wait_alu 0xfffe
	s_mov_b32 s42, s6
	s_mov_b32 s47, 0x3feca52d
	;; [unrolled: 1-line block ×11, first 2 shown]
	v_mul_hi_u32 v69, 0x24924925, v74
	s_mov_b32 s57, 0x3fc7851a
	s_mov_b32 s56, s20
	v_cmp_gt_u32_e64 s0, 17, v68
	s_delay_alu instid0(VALU_DEP_4) | instskip(NEXT) | instid1(VALU_DEP_4)
	v_add_f64_e32 v[75:76], v[8:9], v[75:76]
	v_add_f64_e32 v[77:78], v[10:11], v[77:78]
	s_delay_alu instid0(VALU_DEP_2) | instskip(NEXT) | instid1(VALU_DEP_2)
	v_add_f64_e32 v[75:76], v[20:21], v[75:76]
	v_add_f64_e32 v[77:78], v[22:23], v[77:78]
	s_delay_alu instid0(VALU_DEP_2) | instskip(NEXT) | instid1(VALU_DEP_2)
	;; [unrolled: 3-line block ×5, first 2 shown]
	v_add_f64_e32 v[81:82], v[52:53], v[75:76]
	v_add_f64_e32 v[83:84], v[54:55], v[77:78]
	;; [unrolled: 1-line block ×3, first 2 shown]
	v_add_f64_e64 v[77:78], v[52:53], -v[56:57]
	v_add_f64_e32 v[52:53], v[62:63], v[50:51]
	v_add_f64_e64 v[54:55], v[48:49], -v[60:61]
	v_add_f64_e32 v[56:57], v[56:57], v[81:82]
	v_add_f64_e32 v[58:59], v[58:59], v[83:84]
	;; [unrolled: 1-line block ×5, first 2 shown]
	s_wait_loadcnt 0x0
	v_add_f64_e32 v[38:39], v[4:5], v[32:33]
	v_add_f64_e64 v[32:33], v[32:33], -v[4:5]
	v_add_f64_e32 v[83:84], v[64:65], v[44:45]
	v_add_f64_e64 v[44:45], v[44:45], -v[64:65]
	v_add_f64_e32 v[50:51], v[60:61], v[56:57]
	v_add_f64_e32 v[56:57], v[62:63], v[58:59]
	v_mul_f64_e32 v[101:102], s[6:7], v[32:33]
	v_mul_f64_e32 v[103:104], s[14:15], v[32:33]
	;; [unrolled: 1-line block ×4, first 2 shown]
	v_add_f64_e32 v[58:59], v[64:65], v[50:51]
	v_add_f64_e32 v[56:57], v[66:67], v[56:57]
	v_add_f64_e64 v[50:51], v[36:37], -v[40:41]
	v_add_f64_e64 v[36:37], v[34:35], -v[6:7]
	v_add_f64_e32 v[34:35], v[6:7], v[34:35]
	v_add_f64_e32 v[127:128], v[40:41], v[58:59]
	;; [unrolled: 1-line block ×3, first 2 shown]
	s_delay_alu instid0(VALU_DEP_4)
	v_mul_f64_e32 v[40:41], s[16:17], v[36:37]
	v_mul_f64_e32 v[42:43], s[12:13], v[36:37]
	;; [unrolled: 1-line block ×8, first 2 shown]
	v_fma_f64 v[142:143], v[34:35], s[24:25], v[101:102]
	v_fma_f64 v[140:141], v[34:35], s[24:25], -v[101:102]
	v_fma_f64 v[144:145], v[34:35], s[28:29], -v[103:104]
	v_fma_f64 v[146:147], v[34:35], s[28:29], v[103:104]
	v_fma_f64 v[131:132], v[34:35], s[22:23], -v[99:100]
	v_fma_f64 v[133:134], v[34:35], s[22:23], v[99:100]
	;; [unrolled: 2-line block ×3, first 2 shown]
	v_fma_f64 v[66:67], v[38:39], s[34:35], v[40:41]
	v_fma_f64 v[40:41], v[38:39], s[34:35], -v[40:41]
	v_fma_f64 v[91:92], v[38:39], s[30:31], v[42:43]
	v_fma_f64 v[42:43], v[38:39], s[30:31], -v[42:43]
	;; [unrolled: 2-line block ×8, first 2 shown]
	v_mul_f64_e32 v[38:39], s[12:13], v[32:33]
	v_mul_f64_e32 v[36:37], s[16:17], v[32:33]
	;; [unrolled: 1-line block ×4, first 2 shown]
	v_add_f64_e32 v[103:104], v[28:29], v[66:67]
	v_add_f64_e32 v[101:102], v[28:29], v[40:41]
	;; [unrolled: 1-line block ×3, first 2 shown]
	v_add_f64_e64 v[142:143], v[2:3], -v[14:15]
	v_add_f64_e32 v[105:106], v[28:29], v[91:92]
	v_add_f64_e32 v[66:67], v[30:31], v[140:141]
	v_add_f64_e32 v[137:138], v[28:29], v[113:114]
	v_add_f64_e32 v[113:114], v[28:29], v[58:59]
	v_add_f64_e32 v[135:136], v[28:29], v[115:116]
	v_add_f64_e32 v[115:116], v[28:29], v[60:61]
	v_add_f64_e32 v[60:61], v[30:31], v[144:145]
	v_add_f64_e32 v[144:145], v[12:13], v[0:1]
	v_add_f64_e32 v[140:141], v[24:25], v[127:128]
	v_add_f64_e32 v[128:129], v[26:27], v[129:130]
	v_sub_nc_u32_e32 v127, v74, v69
	v_fma_f64 v[109:110], v[34:35], s[30:31], -v[38:39]
	v_fma_f64 v[107:108], v[34:35], s[34:35], -v[36:37]
	v_fma_f64 v[36:37], v[34:35], s[34:35], v[36:37]
	v_fma_f64 v[38:39], v[34:35], s[30:31], v[38:39]
	v_fma_f64 v[111:112], v[34:35], s[26:27], -v[64:65]
	v_fma_f64 v[64:65], v[34:35], s[26:27], v[64:65]
	v_fma_f64 v[152:153], v[34:35], s[38:39], -v[32:33]
	v_fma_f64 v[154:155], v[34:35], s[38:39], v[32:33]
	v_lshrrev_b32_e32 v127, 1, v127
	s_delay_alu instid0(VALU_DEP_1) | instskip(NEXT) | instid1(VALU_DEP_1)
	v_add_nc_u32_e32 v69, v127, v69
	v_lshrrev_b32_e32 v69, 2, v69
	s_delay_alu instid0(VALU_DEP_1) | instskip(NEXT) | instid1(VALU_DEP_1)
	v_mul_lo_u32 v69, v69, 7
	v_sub_nc_u32_e32 v69, v74, v69
	s_delay_alu instid0(VALU_DEP_1)
	v_mul_u32_u24_e32 v69, 0x242, v69
	v_add_f64_e32 v[91:92], v[30:31], v[109:110]
	v_add_f64_e32 v[109:110], v[28:29], v[42:43]
	;; [unrolled: 1-line block ×3, first 2 shown]
	v_mul_f64_e32 v[146:147], s[20:21], v[142:143]
	v_add_f64_e32 v[99:100], v[30:31], v[107:108]
	v_add_f64_e32 v[32:33], v[30:31], v[36:37]
	v_add_f64_e32 v[34:35], v[30:31], v[38:39]
	v_add_f64_e32 v[107:108], v[28:29], v[93:94]
	v_add_f64_e32 v[93:94], v[30:31], v[111:112]
	v_add_f64_e32 v[111:112], v[28:29], v[56:57]
	v_add_f64_e32 v[36:37], v[30:31], v[64:65]
	v_add_f64_e32 v[64:65], v[30:31], v[131:132]
	v_add_f64_e32 v[38:39], v[30:31], v[133:134]
	v_add_f64_e32 v[133:134], v[28:29], v[117:118]
	v_add_f64_e32 v[117:118], v[28:29], v[62:63]
	v_add_f64_e32 v[131:132], v[28:29], v[119:120]
	v_add_f64_e32 v[62:63], v[30:31], v[148:149]
	v_add_f64_e32 v[119:120], v[28:29], v[121:122]
	v_add_f64_e32 v[56:57], v[30:31], v[150:151]
	v_add_f64_e32 v[121:122], v[28:29], v[123:124]
	v_add_f64_e32 v[58:59], v[30:31], v[152:153]
	v_add_f64_e32 v[123:124], v[28:29], v[125:126]
	v_add_f64_e32 v[28:29], v[30:31], v[154:155]
	v_add_f64_e32 v[30:31], v[24:25], v[20:21]
	v_add_f64_e64 v[20:21], v[20:21], -v[24:25]
	v_add_f64_e64 v[125:126], v[22:23], -v[26:27]
	v_add_f64_e32 v[22:23], v[26:27], v[22:23]
	v_add_f64_e32 v[152:153], v[16:17], v[8:9]
	v_lshlrev_b32_e32 v127, 3, v69
	s_delay_alu instid0(VALU_DEP_1) | instskip(NEXT) | instid1(VALU_DEP_1)
	v_add_nc_u32_e32 v69, 0, v127
	v_mad_u32_u24 v74, 0x88, v68, v69
	v_fma_f64 v[24:25], v[144:145], s[38:39], v[146:147]
	s_delay_alu instid0(VALU_DEP_1) | instskip(SKIP_1) | instid1(VALU_DEP_1)
	v_add_f64_e32 v[24:25], v[24:25], v[137:138]
	v_mul_f64_e32 v[137:138], s[44:45], v[142:143]
	v_fma_f64 v[26:27], v[144:145], s[36:37], v[137:138]
	s_delay_alu instid0(VALU_DEP_1) | instskip(SKIP_1) | instid1(VALU_DEP_1)
	v_add_f64_e32 v[26:27], v[26:27], v[135:136]
	v_mul_f64_e32 v[135:136], s[42:43], v[142:143]
	;; [unrolled: 4-line block ×3, first 2 shown]
	v_fma_f64 v[150:151], v[144:145], s[26:27], v[148:149]
	s_delay_alu instid0(VALU_DEP_1) | instskip(SKIP_1) | instid1(VALU_DEP_1)
	v_add_f64_e32 v[130:131], v[150:151], v[131:132]
	v_add_f64_e64 v[150:151], v[10:11], -v[18:19]
	v_mul_f64_e32 v[154:155], s[42:43], v[150:151]
	s_delay_alu instid0(VALU_DEP_1) | instskip(NEXT) | instid1(VALU_DEP_1)
	v_fma_f64 v[156:157], v[152:153], s[24:25], v[154:155]
	v_add_f64_e32 v[24:25], v[156:157], v[24:25]
	v_mul_f64_e32 v[156:157], s[48:49], v[150:151]
	s_delay_alu instid0(VALU_DEP_1) | instskip(NEXT) | instid1(VALU_DEP_1)
	v_fma_f64 v[158:159], v[152:153], s[30:31], v[156:157]
	v_add_f64_e32 v[26:27], v[158:159], v[26:27]
	;; [unrolled: 4-line block ×24, first 2 shown]
	ds_store_2addr_b64 v74, v[24:25], v[26:27] offset0:4 offset1:5
	ds_store_2addr_b64 v74, v[132:133], v[130:131] offset0:6 offset1:7
	v_add_f64_e64 v[26:27], v[8:9], -v[16:17]
	v_add_f64_e32 v[8:9], v[16:17], v[140:141]
	v_mul_f64_e32 v[16:17], s[50:51], v[142:143]
	v_add_f64_e32 v[24:25], v[18:19], v[10:11]
	v_add_f64_e32 v[10:11], v[18:19], v[128:129]
	s_delay_alu instid0(VALU_DEP_3) | instskip(SKIP_1) | instid1(VALU_DEP_2)
	v_fma_f64 v[18:19], v[144:145], s[34:35], v[16:17]
	v_fma_f64 v[16:17], v[144:145], s[34:35], -v[16:17]
	v_add_f64_e32 v[18:19], v[18:19], v[121:122]
	v_fma_f64 v[121:122], v[144:145], s[24:25], -v[135:136]
	s_delay_alu instid0(VALU_DEP_3) | instskip(NEXT) | instid1(VALU_DEP_2)
	v_add_f64_e32 v[16:17], v[16:17], v[123:124]
	v_add_f64_e32 v[117:118], v[121:122], v[117:118]
	v_fma_f64 v[121:122], v[144:145], s[26:27], -v[148:149]
	s_delay_alu instid0(VALU_DEP_1) | instskip(SKIP_1) | instid1(VALU_DEP_1)
	v_add_f64_e32 v[119:120], v[121:122], v[119:120]
	v_mul_f64_e32 v[121:122], s[18:19], v[150:151]
	v_fma_f64 v[123:124], v[152:153], s[36:37], v[121:122]
	v_fma_f64 v[121:122], v[152:153], s[36:37], -v[121:122]
	s_delay_alu instid0(VALU_DEP_2) | instskip(NEXT) | instid1(VALU_DEP_2)
	v_add_f64_e32 v[18:19], v[123:124], v[18:19]
	v_add_f64_e32 v[16:17], v[121:122], v[16:17]
	v_fma_f64 v[121:122], v[152:153], s[34:35], -v[158:159]
	s_delay_alu instid0(VALU_DEP_1) | instskip(SKIP_1) | instid1(VALU_DEP_1)
	v_add_f64_e32 v[117:118], v[121:122], v[117:118]
	v_fma_f64 v[121:122], v[152:153], s[22:23], -v[160:161]
	v_add_f64_e32 v[119:120], v[121:122], v[119:120]
	v_mul_f64_e32 v[121:122], s[48:49], v[125:126]
	s_delay_alu instid0(VALU_DEP_1) | instskip(SKIP_1) | instid1(VALU_DEP_2)
	v_fma_f64 v[123:124], v[30:31], s[30:31], v[121:122]
	v_fma_f64 v[121:122], v[30:31], s[30:31], -v[121:122]
	v_add_f64_e32 v[18:19], v[123:124], v[18:19]
	s_delay_alu instid0(VALU_DEP_2) | instskip(SKIP_1) | instid1(VALU_DEP_1)
	v_add_f64_e32 v[16:17], v[121:122], v[16:17]
	v_fma_f64 v[121:122], v[30:31], s[36:37], -v[166:167]
	v_add_f64_e32 v[117:118], v[121:122], v[117:118]
	v_fma_f64 v[121:122], v[30:31], s[28:29], -v[168:169]
	s_delay_alu instid0(VALU_DEP_1) | instskip(SKIP_1) | instid1(VALU_DEP_1)
	v_add_f64_e32 v[119:120], v[121:122], v[119:120]
	v_mul_f64_e32 v[121:122], s[14:15], v[97:98]
	v_fma_f64 v[123:124], v[95:96], s[28:29], v[121:122]
	v_fma_f64 v[121:122], v[95:96], s[28:29], -v[121:122]
	s_delay_alu instid0(VALU_DEP_2) | instskip(NEXT) | instid1(VALU_DEP_2)
	v_add_f64_e32 v[18:19], v[123:124], v[18:19]
	v_add_f64_e32 v[16:17], v[121:122], v[16:17]
	v_fma_f64 v[121:122], v[95:96], s[22:23], -v[174:175]
	s_delay_alu instid0(VALU_DEP_1) | instskip(SKIP_1) | instid1(VALU_DEP_1)
	v_add_f64_e32 v[117:118], v[121:122], v[117:118]
	v_fma_f64 v[121:122], v[95:96], s[34:35], -v[176:177]
	v_add_f64_e32 v[119:120], v[121:122], v[119:120]
	v_mul_f64_e32 v[121:122], s[46:47], v[89:90]
	s_delay_alu instid0(VALU_DEP_1) | instskip(SKIP_1) | instid1(VALU_DEP_2)
	v_fma_f64 v[123:124], v[83:84], s[26:27], v[121:122]
	v_fma_f64 v[121:122], v[83:84], s[26:27], -v[121:122]
	v_add_f64_e32 v[18:19], v[123:124], v[18:19]
	s_delay_alu instid0(VALU_DEP_2) | instskip(SKIP_1) | instid1(VALU_DEP_1)
	v_add_f64_e32 v[16:17], v[121:122], v[16:17]
	v_fma_f64 v[121:122], v[83:84], s[30:31], -v[182:183]
	;; [unrolled: 23-line block ×3, first 2 shown]
	v_add_f64_e32 v[117:118], v[121:122], v[117:118]
	v_fma_f64 v[121:122], v[79:80], s[24:25], -v[200:201]
	s_delay_alu instid0(VALU_DEP_1)
	v_add_f64_e32 v[119:120], v[121:122], v[119:120]
	ds_store_2addr_b64 v74, v[18:19], v[16:17] offset0:8 offset1:9
	ds_store_2addr_b64 v74, v[119:120], v[117:118] offset0:10 offset1:11
	v_add_f64_e64 v[117:118], v[0:1], -v[12:13]
	v_add_f64_e32 v[0:1], v[12:13], v[8:9]
	v_mul_f64_e32 v[12:13], s[2:3], v[142:143]
	v_add_f64_e32 v[18:19], v[14:15], v[2:3]
	v_add_f64_e32 v[2:3], v[14:15], v[10:11]
	v_mul_f64_e32 v[16:17], s[14:15], v[142:143]
	v_fma_f64 v[8:9], v[144:145], s[38:39], -v[146:147]
	v_fma_f64 v[10:11], v[144:145], s[36:37], -v[137:138]
	v_add_f64_e32 v[0:1], v[4:5], v[0:1]
	v_fma_f64 v[14:15], v[144:145], s[22:23], -v[12:13]
	v_fma_f64 v[4:5], v[144:145], s[28:29], v[16:17]
	v_add_f64_e32 v[8:9], v[8:9], v[113:114]
	v_add_f64_e32 v[10:11], v[10:11], v[115:116]
	s_delay_alu instid0(VALU_DEP_4) | instskip(SKIP_2) | instid1(VALU_DEP_2)
	v_add_f64_e32 v[14:15], v[14:15], v[109:110]
	v_fma_f64 v[109:110], v[144:145], s[28:29], -v[16:17]
	v_add_f64_e32 v[4:5], v[4:5], v[107:108]
	v_add_f64_e32 v[109:110], v[109:110], v[111:112]
	v_fma_f64 v[111:112], v[152:153], s[24:25], -v[154:155]
	v_mul_f64_e32 v[154:155], s[18:19], v[77:78]
	s_delay_alu instid0(VALU_DEP_2) | instskip(SKIP_1) | instid1(VALU_DEP_1)
	v_add_f64_e32 v[8:9], v[111:112], v[8:9]
	v_fma_f64 v[111:112], v[152:153], s[30:31], -v[156:157]
	v_add_f64_e32 v[10:11], v[111:112], v[10:11]
	v_mul_f64_e32 v[111:112], s[14:15], v[150:151]
	s_delay_alu instid0(VALU_DEP_1) | instskip(NEXT) | instid1(VALU_DEP_1)
	v_fma_f64 v[113:114], v[152:153], s[28:29], -v[111:112]
	v_add_f64_e32 v[14:15], v[113:114], v[14:15]
	v_mul_f64_e32 v[113:114], s[56:57], v[150:151]
	s_delay_alu instid0(VALU_DEP_1) | instskip(NEXT) | instid1(VALU_DEP_1)
	v_fma_f64 v[115:116], v[152:153], s[38:39], -v[113:114]
	v_add_f64_e32 v[109:110], v[115:116], v[109:110]
	v_fma_f64 v[115:116], v[30:31], s[34:35], -v[162:163]
	s_delay_alu instid0(VALU_DEP_1) | instskip(SKIP_1) | instid1(VALU_DEP_1)
	v_add_f64_e32 v[8:9], v[115:116], v[8:9]
	v_fma_f64 v[115:116], v[30:31], s[26:27], -v[164:165]
	v_add_f64_e32 v[10:11], v[115:116], v[10:11]
	v_mul_f64_e32 v[115:116], s[20:21], v[125:126]
	s_delay_alu instid0(VALU_DEP_1) | instskip(NEXT) | instid1(VALU_DEP_1)
	v_fma_f64 v[119:120], v[30:31], s[38:39], -v[115:116]
	v_add_f64_e32 v[14:15], v[119:120], v[14:15]
	v_mul_f64_e32 v[119:120], s[42:43], v[125:126]
	s_delay_alu instid0(VALU_DEP_1) | instskip(NEXT) | instid1(VALU_DEP_1)
	v_fma_f64 v[121:122], v[30:31], s[24:25], -v[119:120]
	v_add_f64_e32 v[109:110], v[121:122], v[109:110]
	v_fma_f64 v[121:122], v[95:96], s[26:27], -v[170:171]
	s_delay_alu instid0(VALU_DEP_1) | instskip(SKIP_1) | instid1(VALU_DEP_1)
	;; [unrolled: 13-line block ×4, first 2 shown]
	v_add_f64_e32 v[8:9], v[132:133], v[8:9]
	v_fma_f64 v[132:133], v[81:82], s[34:35], -v[188:189]
	v_add_f64_e32 v[10:11], v[132:133], v[10:11]
	v_mul_f64_e32 v[132:133], s[46:47], v[87:88]
	s_delay_alu instid0(VALU_DEP_1) | instskip(NEXT) | instid1(VALU_DEP_1)
	v_fma_f64 v[134:135], v[81:82], s[26:27], -v[132:133]
	v_add_f64_e32 v[14:15], v[134:135], v[14:15]
	v_mul_f64_e32 v[134:135], s[2:3], v[87:88]
	v_mul_f64_e32 v[87:88], s[18:19], v[87:88]
	s_delay_alu instid0(VALU_DEP_2) | instskip(NEXT) | instid1(VALU_DEP_1)
	v_fma_f64 v[136:137], v[81:82], s[22:23], -v[134:135]
	v_add_f64_e32 v[109:110], v[136:137], v[109:110]
	v_fma_f64 v[136:137], v[79:80], s[30:31], -v[194:195]
	s_delay_alu instid0(VALU_DEP_1) | instskip(SKIP_1) | instid1(VALU_DEP_1)
	v_add_f64_e32 v[8:9], v[136:137], v[8:9]
	v_fma_f64 v[136:137], v[79:80], s[28:29], -v[196:197]
	v_add_f64_e32 v[10:11], v[136:137], v[10:11]
	v_mul_f64_e32 v[136:137], s[50:51], v[85:86]
	s_delay_alu instid0(VALU_DEP_1) | instskip(NEXT) | instid1(VALU_DEP_1)
	v_fma_f64 v[140:141], v[79:80], s[34:35], -v[136:137]
	v_add_f64_e32 v[14:15], v[140:141], v[14:15]
	v_mul_f64_e32 v[140:141], s[18:19], v[85:86]
	v_mul_f64_e32 v[85:86], s[20:21], v[85:86]
	s_delay_alu instid0(VALU_DEP_2) | instskip(NEXT) | instid1(VALU_DEP_1)
	v_fma_f64 v[146:147], v[79:80], s[36:37], -v[140:141]
	v_add_f64_e32 v[109:110], v[146:147], v[109:110]
	ds_store_2addr_b64 v74, v[10:11], v[8:9] offset0:12 offset1:13
	ds_store_2addr_b64 v74, v[109:110], v[14:15] offset0:14 offset1:15
	v_add_f64_e32 v[109:110], v[6:7], v[2:3]
	v_fma_f64 v[2:3], v[144:145], s[22:23], v[12:13]
	v_fma_f64 v[10:11], v[152:153], s[28:29], v[111:112]
	v_mul_f64_e32 v[6:7], s[12:13], v[142:143]
	v_mul_f64_e32 v[111:112], s[56:57], v[26:27]
	;; [unrolled: 1-line block ×4, first 2 shown]
	v_add_f64_e32 v[2:3], v[2:3], v[105:106]
	v_mul_f64_e32 v[106:107], s[14:15], v[26:27]
	v_fma_f64 v[8:9], v[144:145], s[30:31], v[6:7]
	s_delay_alu instid0(VALU_DEP_3) | instskip(SKIP_1) | instid1(VALU_DEP_3)
	v_add_f64_e32 v[2:3], v[10:11], v[2:3]
	v_fma_f64 v[10:11], v[152:153], s[38:39], v[113:114]
	v_add_f64_e32 v[8:9], v[8:9], v[103:104]
	v_mul_f64_e32 v[113:114], s[2:3], v[20:21]
	s_delay_alu instid0(VALU_DEP_3) | instskip(SKIP_2) | instid1(VALU_DEP_2)
	v_add_f64_e32 v[4:5], v[10:11], v[4:5]
	v_mul_f64_e32 v[10:11], s[8:9], v[150:151]
	v_mul_f64_e32 v[150:151], s[50:51], v[77:78]
	v_fma_f64 v[12:13], v[152:153], s[26:27], v[10:11]
	s_delay_alu instid0(VALU_DEP_1) | instskip(SKIP_2) | instid1(VALU_DEP_2)
	v_add_f64_e32 v[8:9], v[12:13], v[8:9]
	v_fma_f64 v[12:13], v[30:31], s[38:39], v[115:116]
	v_mul_f64_e32 v[115:116], s[20:21], v[20:21]
	v_add_f64_e32 v[2:3], v[12:13], v[2:3]
	v_fma_f64 v[12:13], v[30:31], s[24:25], v[119:120]
	s_delay_alu instid0(VALU_DEP_1) | instskip(SKIP_2) | instid1(VALU_DEP_2)
	v_add_f64_e32 v[4:5], v[12:13], v[4:5]
	v_mul_f64_e32 v[12:13], s[2:3], v[125:126]
	v_mul_f64_e32 v[125:126], s[6:7], v[50:51]
	v_fma_f64 v[14:15], v[30:31], s[22:23], v[12:13]
	s_delay_alu instid0(VALU_DEP_1) | instskip(SKIP_1) | instid1(VALU_DEP_1)
	v_add_f64_e32 v[8:9], v[14:15], v[8:9]
	v_fma_f64 v[14:15], v[95:96], s[36:37], v[121:122]
	v_add_f64_e32 v[2:3], v[14:15], v[2:3]
	v_fma_f64 v[14:15], v[95:96], s[30:31], v[123:124]
	v_mul_f64_e32 v[123:124], s[42:43], v[20:21]
	s_delay_alu instid0(VALU_DEP_2) | instskip(SKIP_1) | instid1(VALU_DEP_1)
	v_add_f64_e32 v[4:5], v[14:15], v[4:5]
	v_mul_f64_e32 v[14:15], s[6:7], v[97:98]
	v_fma_f64 v[16:17], v[95:96], s[24:25], v[14:15]
	s_delay_alu instid0(VALU_DEP_1) | instskip(SKIP_2) | instid1(VALU_DEP_2)
	v_add_f64_e32 v[8:9], v[16:17], v[8:9]
	v_fma_f64 v[16:17], v[83:84], s[24:25], v[128:129]
	v_mul_f64_e32 v[128:129], s[44:45], v[50:51]
	v_add_f64_e32 v[2:3], v[16:17], v[2:3]
	v_fma_f64 v[16:17], v[83:84], s[34:35], v[130:131]
	v_mul_f64_e32 v[130:131], s[48:49], v[50:51]
	s_delay_alu instid0(VALU_DEP_2) | instskip(SKIP_1) | instid1(VALU_DEP_1)
	v_add_f64_e32 v[4:5], v[16:17], v[4:5]
	v_mul_f64_e32 v[16:17], s[14:15], v[89:90]
	v_fma_f64 v[89:90], v[83:84], s[28:29], v[16:17]
	s_delay_alu instid0(VALU_DEP_1) | instskip(SKIP_2) | instid1(VALU_DEP_2)
	v_add_f64_e32 v[8:9], v[89:90], v[8:9]
	v_fma_f64 v[89:90], v[81:82], s[26:27], v[132:133]
	v_mul_f64_e32 v[132:133], s[14:15], v[44:45]
	v_add_f64_e32 v[2:3], v[89:90], v[2:3]
	v_fma_f64 v[89:90], v[81:82], s[22:23], v[134:135]
	v_mul_f64_e32 v[134:135], s[42:43], v[44:45]
	s_delay_alu instid0(VALU_DEP_2) | instskip(SKIP_1) | instid1(VALU_DEP_1)
	v_add_f64_e32 v[4:5], v[89:90], v[4:5]
	v_fma_f64 v[89:90], v[81:82], s[36:37], v[87:88]
	v_add_f64_e32 v[8:9], v[89:90], v[8:9]
	v_fma_f64 v[89:90], v[79:80], s[34:35], v[136:137]
	v_mul_f64_e32 v[136:137], s[16:17], v[44:45]
	s_delay_alu instid0(VALU_DEP_2) | instskip(SKIP_2) | instid1(VALU_DEP_2)
	v_add_f64_e32 v[2:3], v[89:90], v[2:3]
	v_fma_f64 v[89:90], v[79:80], s[36:37], v[140:141]
	v_mul_f64_e32 v[140:141], s[18:19], v[54:55]
	v_add_f64_e32 v[4:5], v[89:90], v[4:5]
	v_fma_f64 v[89:90], v[79:80], s[38:39], v[85:86]
	s_delay_alu instid0(VALU_DEP_1)
	v_add_f64_e32 v[8:9], v[89:90], v[8:9]
	ds_store_2addr_b64 v74, v[2:3], v[4:5] offset0:2 offset1:3
	ds_store_2addr_b64 v74, v[0:1], v[8:9] offset1:1
	v_fma_f64 v[0:1], v[144:145], s[30:31], -v[6:7]
	v_fma_f64 v[6:7], v[95:96], s[24:25], -v[14:15]
	v_mul_f64_e32 v[95:96], s[2:3], v[117:118]
	v_fma_f64 v[8:9], v[83:84], s[28:29], -v[16:17]
	v_fma_f64 v[4:5], v[30:31], s[22:23], -v[12:13]
	;; [unrolled: 1-line block ×3, first 2 shown]
	v_mul_f64_e32 v[79:80], s[12:13], v[117:118]
	v_fma_f64 v[2:3], v[152:153], s[26:27], -v[10:11]
	v_mul_f64_e32 v[144:145], s[2:3], v[54:55]
	v_fma_f64 v[10:11], v[81:82], s[36:37], -v[87:88]
	s_load_b64 s[40:41], s[40:41], 0x0
	v_add_f64_e32 v[0:1], v[0:1], v[101:102]
	v_fma_f64 v[16:17], v[18:19], s[22:23], -v[95:96]
	v_fma_f64 v[14:15], v[18:19], s[30:31], -v[79:80]
	s_delay_alu instid0(VALU_DEP_3) | instskip(NEXT) | instid1(VALU_DEP_3)
	v_add_f64_e32 v[0:1], v[2:3], v[0:1]
	v_add_f64_e32 v[16:17], v[16:17], v[91:92]
	v_mul_f64_e32 v[90:91], s[14:15], v[117:118]
	s_delay_alu instid0(VALU_DEP_4) | instskip(NEXT) | instid1(VALU_DEP_4)
	v_add_f64_e32 v[14:15], v[14:15], v[99:100]
	v_add_f64_e32 v[0:1], v[4:5], v[0:1]
	v_fma_f64 v[4:5], v[22:23], s[22:23], -v[113:114]
	s_delay_alu instid0(VALU_DEP_4) | instskip(NEXT) | instid1(VALU_DEP_3)
	v_fma_f64 v[30:31], v[18:19], s[28:29], -v[90:91]
	v_add_f64_e32 v[0:1], v[6:7], v[0:1]
	v_fma_f64 v[6:7], v[46:47], s[24:25], -v[125:126]
	s_delay_alu instid0(VALU_DEP_3) | instskip(SKIP_1) | instid1(VALU_DEP_4)
	v_add_f64_e32 v[30:31], v[30:31], v[93:94]
	v_mul_f64_e32 v[92:93], s[8:9], v[26:27]
	v_add_f64_e32 v[0:1], v[8:9], v[0:1]
	v_fma_f64 v[8:9], v[48:49], s[28:29], -v[132:133]
	s_delay_alu instid0(VALU_DEP_3) | instskip(NEXT) | instid1(VALU_DEP_3)
	v_fma_f64 v[2:3], v[24:25], s[26:27], -v[92:93]
	v_add_f64_e32 v[0:1], v[10:11], v[0:1]
	s_delay_alu instid0(VALU_DEP_2) | instskip(SKIP_1) | instid1(VALU_DEP_3)
	v_add_f64_e32 v[2:3], v[2:3], v[14:15]
	v_fma_f64 v[14:15], v[24:25], s[28:29], -v[106:107]
	v_add_f64_e32 v[0:1], v[12:13], v[0:1]
	s_delay_alu instid0(VALU_DEP_3) | instskip(NEXT) | instid1(VALU_DEP_3)
	v_add_f64_e32 v[2:3], v[4:5], v[2:3]
	v_add_f64_e32 v[14:15], v[14:15], v[16:17]
	v_fma_f64 v[16:17], v[24:25], s[38:39], -v[111:112]
	v_fma_f64 v[4:5], v[22:23], s[38:39], -v[115:116]
	ds_store_b64 v74, v[0:1] offset:128
	v_lshlrev_b32_e32 v0, 3, v68
	global_wb scope:SCOPE_SE
	s_wait_dscnt 0x0
	s_wait_kmcnt 0x0
	s_barrier_signal -1
	v_add_f64_e32 v[2:3], v[6:7], v[2:3]
	v_fma_f64 v[6:7], v[46:47], s[36:37], -v[128:129]
	v_add_f64_e32 v[16:17], v[16:17], v[30:31]
	v_add_f64_e32 v[4:5], v[4:5], v[14:15]
	v_fma_f64 v[14:15], v[22:23], s[24:25], -v[123:124]
	v_add_nc_u32_e32 v120, v69, v0
	v_add3_u32 v69, 0, v0, v127
	s_barrier_wait -1
	global_inv scope:SCOPE_SE
	v_add_nc_u32_e32 v122, 0x400, v69
	v_add_nc_u32_e32 v121, 0x800, v69
	;; [unrolled: 1-line block ×3, first 2 shown]
	v_add_f64_e32 v[2:3], v[8:9], v[2:3]
	v_fma_f64 v[8:9], v[48:49], s[24:25], -v[134:135]
	v_add_f64_e32 v[4:5], v[6:7], v[4:5]
	v_add_f64_e32 v[14:15], v[14:15], v[16:17]
	v_fma_f64 v[6:7], v[46:47], s[30:31], -v[130:131]
	s_delay_alu instid0(VALU_DEP_3) | instskip(SKIP_1) | instid1(VALU_DEP_3)
	v_add_f64_e32 v[4:5], v[8:9], v[4:5]
	v_fma_f64 v[8:9], v[48:49], s[34:35], -v[136:137]
	v_add_f64_e32 v[6:7], v[6:7], v[14:15]
	s_delay_alu instid0(VALU_DEP_1) | instskip(SKIP_1) | instid1(VALU_DEP_1)
	v_add_f64_e32 v[6:7], v[8:9], v[6:7]
	v_fma_f64 v[8:9], v[52:53], s[36:37], -v[140:141]
	v_add_f64_e32 v[2:3], v[8:9], v[2:3]
	v_fma_f64 v[8:9], v[52:53], s[26:27], -v[142:143]
	s_delay_alu instid0(VALU_DEP_1) | instskip(SKIP_1) | instid1(VALU_DEP_1)
	v_add_f64_e32 v[4:5], v[8:9], v[4:5]
	v_fma_f64 v[8:9], v[52:53], s[22:23], -v[144:145]
	v_add_f64_e32 v[6:7], v[8:9], v[6:7]
	v_fma_f64 v[8:9], v[75:76], s[38:39], -v[146:147]
	;; [unrolled: 5-line block ×3, first 2 shown]
	s_delay_alu instid0(VALU_DEP_1)
	v_add_f64_e32 v[156:157], v[2:3], v[6:7]
	ds_load_b64 v[16:17], v120
	ds_load_2addr_b64 v[82:85], v69 offset0:34 offset1:68
	ds_load_2addr_b64 v[86:89], v69 offset0:102 offset1:136
	;; [unrolled: 1-line block ×8, first 2 shown]
	global_wb scope:SCOPE_SE
	s_wait_dscnt 0x0
	s_barrier_signal -1
	s_barrier_wait -1
	global_inv scope:SCOPE_SE
	ds_store_2addr_b64 v74, v[109:110], v[148:149] offset1:1
	ds_store_2addr_b64 v74, v[152:153], v[156:157] offset0:2 offset1:3
	v_mul_f64_e32 v[108:109], s[20:21], v[117:118]
	s_delay_alu instid0(VALU_DEP_1) | instskip(NEXT) | instid1(VALU_DEP_1)
	v_fma_f64 v[148:149], v[18:19], s[38:39], -v[108:109]
	v_add_f64_e32 v[64:65], v[148:149], v[64:65]
	v_mul_f64_e32 v[148:149], s[44:45], v[117:118]
	s_delay_alu instid0(VALU_DEP_1) | instskip(NEXT) | instid1(VALU_DEP_1)
	v_fma_f64 v[152:153], v[18:19], s[36:37], -v[148:149]
	v_add_f64_e32 v[66:67], v[152:153], v[66:67]
	;; [unrolled: 4-line block ×17, first 2 shown]
	v_mul_f64_e32 v[184:185], s[2:3], v[26:27]
	v_mul_f64_e32 v[26:27], s[18:19], v[26:27]
	s_delay_alu instid0(VALU_DEP_2) | instskip(NEXT) | instid1(VALU_DEP_1)
	v_fma_f64 v[186:187], v[24:25], s[22:23], -v[184:185]
	v_add_f64_e32 v[62:63], v[186:187], v[62:63]
	v_mul_f64_e32 v[186:187], s[18:19], v[20:21]
	s_delay_alu instid0(VALU_DEP_1) | instskip(NEXT) | instid1(VALU_DEP_1)
	v_fma_f64 v[188:189], v[22:23], s[36:37], -v[186:187]
	v_add_f64_e32 v[60:61], v[188:189], v[60:61]
	v_mul_f64_e32 v[188:189], s[52:53], v[20:21]
	v_mul_f64_e32 v[20:21], s[48:49], v[20:21]
	s_delay_alu instid0(VALU_DEP_2) | instskip(NEXT) | instid1(VALU_DEP_1)
	v_fma_f64 v[190:191], v[22:23], s[28:29], -v[188:189]
	v_add_f64_e32 v[62:63], v[190:191], v[62:63]
	v_mul_f64_e32 v[190:191], s[54:55], v[50:51]
	s_delay_alu instid0(VALU_DEP_1) | instskip(NEXT) | instid1(VALU_DEP_1)
	v_fma_f64 v[192:193], v[46:47], s[22:23], -v[190:191]
	v_add_f64_e32 v[60:61], v[192:193], v[60:61]
	v_mul_f64_e32 v[192:193], s[16:17], v[50:51]
	s_delay_alu instid0(VALU_DEP_1) | instskip(NEXT) | instid1(VALU_DEP_1)
	v_fma_f64 v[194:195], v[46:47], s[34:35], -v[192:193]
	v_add_f64_e32 v[62:63], v[194:195], v[62:63]
	v_mul_f64_e32 v[194:195], s[12:13], v[44:45]
	s_delay_alu instid0(VALU_DEP_1) | instskip(NEXT) | instid1(VALU_DEP_1)
	v_fma_f64 v[196:197], v[48:49], s[30:31], -v[194:195]
	v_add_f64_e32 v[60:61], v[196:197], v[60:61]
	v_mul_f64_e32 v[196:197], s[20:21], v[44:45]
	s_delay_alu instid0(VALU_DEP_1) | instskip(NEXT) | instid1(VALU_DEP_1)
	v_fma_f64 v[198:199], v[48:49], s[38:39], -v[196:197]
	v_add_f64_e32 v[62:63], v[198:199], v[62:63]
	v_mul_f64_e32 v[198:199], s[20:21], v[54:55]
	s_delay_alu instid0(VALU_DEP_1) | instskip(NEXT) | instid1(VALU_DEP_1)
	v_fma_f64 v[200:201], v[52:53], s[38:39], -v[198:199]
	v_add_f64_e32 v[60:61], v[200:201], v[60:61]
	v_mul_f64_e32 v[200:201], s[48:49], v[54:55]
	s_delay_alu instid0(VALU_DEP_1) | instskip(NEXT) | instid1(VALU_DEP_1)
	v_fma_f64 v[202:203], v[52:53], s[30:31], -v[200:201]
	v_add_f64_e32 v[62:63], v[202:203], v[62:63]
	v_mul_f64_e32 v[202:203], s[46:47], v[77:78]
	s_delay_alu instid0(VALU_DEP_1) | instskip(NEXT) | instid1(VALU_DEP_1)
	v_fma_f64 v[204:205], v[75:76], s[26:27], -v[202:203]
	v_add_f64_e32 v[60:61], v[204:205], v[60:61]
	v_mul_f64_e32 v[204:205], s[6:7], v[77:78]
	s_delay_alu instid0(VALU_DEP_1) | instskip(NEXT) | instid1(VALU_DEP_1)
	v_fma_f64 v[206:207], v[75:76], s[24:25], -v[204:205]
	v_add_f64_e32 v[62:63], v[206:207], v[62:63]
	ds_store_2addr_b64 v74, v[64:65], v[66:67] offset0:4 offset1:5
	ds_store_2addr_b64 v74, v[60:61], v[62:63] offset0:6 offset1:7
	v_mul_f64_e32 v[60:61], s[50:51], v[117:118]
	s_delay_alu instid0(VALU_DEP_1) | instskip(SKIP_1) | instid1(VALU_DEP_2)
	v_fma_f64 v[62:63], v[18:19], s[34:35], -v[60:61]
	v_fma_f64 v[60:61], v[18:19], s[34:35], v[60:61]
	v_add_f64_e32 v[58:59], v[62:63], v[58:59]
	s_delay_alu instid0(VALU_DEP_2) | instskip(SKIP_2) | instid1(VALU_DEP_2)
	v_add_f64_e32 v[28:29], v[60:61], v[28:29]
	v_fma_f64 v[60:61], v[24:25], s[36:37], -v[26:27]
	v_fma_f64 v[26:27], v[24:25], s[36:37], v[26:27]
	v_add_f64_e32 v[58:59], v[60:61], v[58:59]
	s_delay_alu instid0(VALU_DEP_2) | instskip(SKIP_3) | instid1(VALU_DEP_1)
	v_add_f64_e32 v[26:27], v[26:27], v[28:29]
	v_fma_f64 v[28:29], v[22:23], s[30:31], -v[20:21]
	v_fma_f64 v[20:21], v[22:23], s[30:31], v[20:21]
	v_subrev_nc_u32_e32 v60, 17, v68
	v_cndmask_b32_e64 v67, v60, v68, s0
	s_delay_alu instid0(VALU_DEP_4) | instskip(NEXT) | instid1(VALU_DEP_4)
	v_add_f64_e32 v[28:29], v[28:29], v[58:59]
	v_add_f64_e32 v[20:21], v[20:21], v[26:27]
	v_mul_f64_e32 v[26:27], s[14:15], v[50:51]
	s_delay_alu instid0(VALU_DEP_1) | instskip(SKIP_1) | instid1(VALU_DEP_2)
	v_fma_f64 v[50:51], v[46:47], s[28:29], -v[26:27]
	v_fma_f64 v[26:27], v[46:47], s[28:29], v[26:27]
	v_add_f64_e32 v[28:29], v[50:51], v[28:29]
	s_delay_alu instid0(VALU_DEP_2) | instskip(SKIP_1) | instid1(VALU_DEP_1)
	v_add_f64_e32 v[20:21], v[26:27], v[20:21]
	v_mul_f64_e32 v[26:27], s[46:47], v[44:45]
	v_fma_f64 v[44:45], v[48:49], s[26:27], -v[26:27]
	v_fma_f64 v[26:27], v[48:49], s[26:27], v[26:27]
	s_delay_alu instid0(VALU_DEP_2) | instskip(NEXT) | instid1(VALU_DEP_2)
	v_add_f64_e32 v[28:29], v[44:45], v[28:29]
	v_add_f64_e32 v[20:21], v[26:27], v[20:21]
	v_mul_f64_e32 v[26:27], s[6:7], v[54:55]
	s_delay_alu instid0(VALU_DEP_1) | instskip(SKIP_1) | instid1(VALU_DEP_2)
	v_fma_f64 v[44:45], v[52:53], s[24:25], -v[26:27]
	v_fma_f64 v[26:27], v[52:53], s[24:25], v[26:27]
	v_add_f64_e32 v[28:29], v[44:45], v[28:29]
	s_delay_alu instid0(VALU_DEP_2) | instskip(SKIP_1) | instid1(VALU_DEP_1)
	v_add_f64_e32 v[20:21], v[26:27], v[20:21]
	v_mul_f64_e32 v[26:27], s[54:55], v[77:78]
	v_fma_f64 v[44:45], v[75:76], s[22:23], -v[26:27]
	v_fma_f64 v[26:27], v[75:76], s[22:23], v[26:27]
	s_delay_alu instid0(VALU_DEP_2) | instskip(NEXT) | instid1(VALU_DEP_2)
	v_add_f64_e32 v[28:29], v[44:45], v[28:29]
	v_add_f64_e32 v[20:21], v[26:27], v[20:21]
	v_fma_f64 v[26:27], v[18:19], s[24:25], v[178:179]
	v_fma_f64 v[44:45], v[24:25], s[34:35], v[182:183]
	s_delay_alu instid0(VALU_DEP_2) | instskip(SKIP_1) | instid1(VALU_DEP_2)
	v_add_f64_e32 v[26:27], v[26:27], v[42:43]
	v_fma_f64 v[42:43], v[18:19], s[26:27], v[180:181]
	v_add_f64_e32 v[26:27], v[44:45], v[26:27]
	s_delay_alu instid0(VALU_DEP_2) | instskip(SKIP_1) | instid1(VALU_DEP_1)
	v_add_f64_e32 v[42:43], v[42:43], v[56:57]
	v_fma_f64 v[44:45], v[24:25], s[22:23], v[184:185]
	v_add_f64_e32 v[42:43], v[44:45], v[42:43]
	v_fma_f64 v[44:45], v[22:23], s[36:37], v[186:187]
	s_delay_alu instid0(VALU_DEP_1) | instskip(SKIP_1) | instid1(VALU_DEP_1)
	v_add_f64_e32 v[26:27], v[44:45], v[26:27]
	v_fma_f64 v[44:45], v[22:23], s[28:29], v[188:189]
	v_add_f64_e32 v[42:43], v[44:45], v[42:43]
	v_fma_f64 v[44:45], v[46:47], s[22:23], v[190:191]
	s_delay_alu instid0(VALU_DEP_1) | instskip(SKIP_1) | instid1(VALU_DEP_1)
	;; [unrolled: 5-line block ×5, first 2 shown]
	v_add_f64_e32 v[26:27], v[44:45], v[26:27]
	v_fma_f64 v[44:45], v[75:76], s[24:25], v[204:205]
	v_add_f64_e32 v[42:43], v[44:45], v[42:43]
	ds_store_2addr_b64 v74, v[28:29], v[20:21] offset0:8 offset1:9
	ds_store_2addr_b64 v74, v[42:43], v[26:27] offset0:10 offset1:11
	v_fma_f64 v[20:21], v[18:19], s[38:39], v[108:109]
	v_fma_f64 v[26:27], v[18:19], s[36:37], v[148:149]
	;; [unrolled: 1-line block ×3, first 2 shown]
	s_delay_alu instid0(VALU_DEP_3) | instskip(NEXT) | instid1(VALU_DEP_3)
	v_add_f64_e32 v[20:21], v[20:21], v[38:39]
	v_add_f64_e32 v[26:27], v[26:27], v[40:41]
	s_delay_alu instid0(VALU_DEP_2) | instskip(SKIP_1) | instid1(VALU_DEP_1)
	v_add_f64_e32 v[20:21], v[28:29], v[20:21]
	v_fma_f64 v[28:29], v[24:25], s[30:31], v[156:157]
	v_add_f64_e32 v[26:27], v[28:29], v[26:27]
	v_fma_f64 v[28:29], v[22:23], s[34:35], v[158:159]
	s_delay_alu instid0(VALU_DEP_1) | instskip(SKIP_1) | instid1(VALU_DEP_1)
	v_add_f64_e32 v[20:21], v[28:29], v[20:21]
	v_fma_f64 v[28:29], v[22:23], s[26:27], v[160:161]
	v_add_f64_e32 v[26:27], v[28:29], v[26:27]
	v_fma_f64 v[28:29], v[46:47], s[26:27], v[162:163]
	s_delay_alu instid0(VALU_DEP_1) | instskip(SKIP_1) | instid1(VALU_DEP_1)
	;; [unrolled: 5-line block ×5, first 2 shown]
	v_add_f64_e32 v[20:21], v[28:29], v[20:21]
	v_fma_f64 v[28:29], v[75:76], s[28:29], v[176:177]
	v_add_f64_e32 v[26:27], v[28:29], v[26:27]
	v_fma_f64 v[28:29], v[18:19], s[22:23], v[95:96]
	s_delay_alu instid0(VALU_DEP_1) | instskip(SKIP_2) | instid1(VALU_DEP_2)
	v_add_f64_e32 v[28:29], v[28:29], v[34:35]
	v_fma_f64 v[34:35], v[18:19], s[28:29], v[90:91]
	v_fma_f64 v[18:19], v[18:19], s[30:31], v[79:80]
	v_add_f64_e32 v[34:35], v[34:35], v[36:37]
	v_fma_f64 v[36:37], v[24:25], s[28:29], v[106:107]
	s_delay_alu instid0(VALU_DEP_3) | instskip(NEXT) | instid1(VALU_DEP_2)
	v_add_f64_e32 v[18:19], v[18:19], v[32:33]
	v_add_f64_e32 v[28:29], v[36:37], v[28:29]
	v_fma_f64 v[36:37], v[24:25], s[38:39], v[111:112]
	s_delay_alu instid0(VALU_DEP_1) | instskip(SKIP_1) | instid1(VALU_DEP_1)
	v_add_f64_e32 v[34:35], v[36:37], v[34:35]
	v_fma_f64 v[36:37], v[22:23], s[38:39], v[115:116]
	v_add_f64_e32 v[28:29], v[36:37], v[28:29]
	v_fma_f64 v[36:37], v[22:23], s[24:25], v[123:124]
	v_fma_f64 v[22:23], v[22:23], s[22:23], v[113:114]
	s_delay_alu instid0(VALU_DEP_2) | instskip(SKIP_1) | instid1(VALU_DEP_1)
	v_add_f64_e32 v[34:35], v[36:37], v[34:35]
	v_fma_f64 v[36:37], v[46:47], s[36:37], v[128:129]
	v_add_f64_e32 v[28:29], v[36:37], v[28:29]
	v_fma_f64 v[36:37], v[46:47], s[30:31], v[130:131]
	s_delay_alu instid0(VALU_DEP_1) | instskip(SKIP_1) | instid1(VALU_DEP_1)
	v_add_f64_e32 v[34:35], v[36:37], v[34:35]
	v_fma_f64 v[36:37], v[48:49], s[24:25], v[134:135]
	v_add_f64_e32 v[28:29], v[36:37], v[28:29]
	v_fma_f64 v[36:37], v[48:49], s[34:35], v[136:137]
	s_delay_alu instid0(VALU_DEP_1) | instskip(SKIP_1) | instid1(VALU_DEP_1)
	;; [unrolled: 5-line block ×3, first 2 shown]
	v_add_f64_e32 v[34:35], v[36:37], v[34:35]
	v_fma_f64 v[36:37], v[75:76], s[34:35], v[150:151]
	v_add_f64_e32 v[28:29], v[36:37], v[28:29]
	v_fma_f64 v[36:37], v[75:76], s[36:37], v[154:155]
	s_delay_alu instid0(VALU_DEP_1) | instskip(SKIP_3) | instid1(VALU_DEP_1)
	v_add_f64_e32 v[34:35], v[36:37], v[34:35]
	ds_store_2addr_b64 v74, v[26:27], v[20:21] offset0:12 offset1:13
	ds_store_2addr_b64 v74, v[34:35], v[28:29] offset0:14 offset1:15
	v_fma_f64 v[20:21], v[24:25], s[26:27], v[92:93]
	v_add_f64_e32 v[18:19], v[20:21], v[18:19]
	v_fma_f64 v[20:21], v[46:47], s[24:25], v[125:126]
	s_delay_alu instid0(VALU_DEP_2) | instskip(NEXT) | instid1(VALU_DEP_1)
	v_add_f64_e32 v[18:19], v[22:23], v[18:19]
	v_add_f64_e32 v[18:19], v[20:21], v[18:19]
	v_fma_f64 v[20:21], v[48:49], s[28:29], v[132:133]
	s_delay_alu instid0(VALU_DEP_1) | instskip(SKIP_1) | instid1(VALU_DEP_1)
	v_add_f64_e32 v[18:19], v[20:21], v[18:19]
	v_fma_f64 v[20:21], v[52:53], s[36:37], v[140:141]
	v_add_f64_e32 v[18:19], v[20:21], v[18:19]
	v_fma_f64 v[20:21], v[75:76], s[38:39], v[146:147]
	s_delay_alu instid0(VALU_DEP_1)
	v_add_f64_e32 v[18:19], v[20:21], v[18:19]
	ds_store_b64 v74, v[18:19] offset:128
	v_dual_mov_b32 v19, 0 :: v_dual_lshlrev_b32 v18, 4, v67
	global_wb scope:SCOPE_SE
	s_wait_dscnt 0x0
	s_barrier_signal -1
	s_barrier_wait -1
	global_inv scope:SCOPE_SE
	v_lshlrev_b64_e32 v[18:19], 4, v[18:19]
	v_lshlrev_b32_e32 v67, 3, v67
	s_delay_alu instid0(VALU_DEP_2) | instskip(SKIP_1) | instid1(VALU_DEP_3)
	v_add_co_u32 v34, s1, s4, v18
	s_wait_alu 0xf1ff
	v_add_co_ci_u32_e64 v35, s1, s5, v19, s1
	s_clause 0x1
	global_load_b128 v[18:21], v[34:35], off
	global_load_b128 v[22:25], v[34:35], off offset:16
	ds_load_2addr_b64 v[26:29], v69 offset0:34 offset1:68
	v_cmp_lt_u32_e64 s1, 16, v68
	s_wait_loadcnt_dscnt 0x100
	v_mul_f64_e32 v[31:32], v[26:27], v[20:21]
	v_mul_f64_e32 v[20:21], v[82:83], v[20:21]
	s_delay_alu instid0(VALU_DEP_2) | instskip(NEXT) | instid1(VALU_DEP_2)
	v_fma_f64 v[54:55], v[82:83], v[18:19], v[31:32]
	v_fma_f64 v[94:95], v[26:27], v[18:19], -v[20:21]
	s_wait_loadcnt 0x0
	v_mul_f64_e32 v[18:19], v[28:29], v[24:25]
	s_delay_alu instid0(VALU_DEP_1) | instskip(SKIP_1) | instid1(VALU_DEP_1)
	v_fma_f64 v[82:83], v[84:85], v[22:23], v[18:19]
	v_mul_f64_e32 v[18:19], v[84:85], v[24:25]
	v_fma_f64 v[96:97], v[28:29], v[22:23], -v[18:19]
	s_clause 0x1
	global_load_b128 v[18:21], v[34:35], off offset:32
	global_load_b128 v[22:25], v[34:35], off offset:48
	ds_load_2addr_b64 v[26:29], v69 offset0:102 offset1:136
	s_wait_loadcnt_dscnt 0x100
	v_mul_f64_e32 v[31:32], v[26:27], v[20:21]
	v_mul_f64_e32 v[20:21], v[86:87], v[20:21]
	s_delay_alu instid0(VALU_DEP_2) | instskip(NEXT) | instid1(VALU_DEP_2)
	v_fma_f64 v[84:85], v[86:87], v[18:19], v[31:32]
	v_fma_f64 v[92:93], v[26:27], v[18:19], -v[20:21]
	s_wait_loadcnt 0x0
	v_mul_f64_e32 v[18:19], v[28:29], v[24:25]
	s_delay_alu instid0(VALU_DEP_1) | instskip(SKIP_1) | instid1(VALU_DEP_1)
	v_fma_f64 v[86:87], v[88:89], v[22:23], v[18:19]
	v_mul_f64_e32 v[18:19], v[88:89], v[24:25]
	v_fma_f64 v[88:89], v[28:29], v[22:23], -v[18:19]
	s_clause 0x1
	global_load_b128 v[18:21], v[34:35], off offset:64
	global_load_b128 v[22:25], v[34:35], off offset:80
	ds_load_2addr_b64 v[26:29], v69 offset0:170 offset1:204
	;; [unrolled: 16-line block ×4, first 2 shown]
	s_wait_loadcnt_dscnt 0x100
	v_mul_f64_e32 v[31:32], v[26:27], v[20:21]
	s_delay_alu instid0(VALU_DEP_1) | instskip(SKIP_1) | instid1(VALU_DEP_2)
	v_fma_f64 v[50:51], v[12:13], v[18:19], v[31:32]
	v_mul_f64_e32 v[12:13], v[12:13], v[20:21]
	v_add_f64_e32 v[142:143], v[48:49], v[50:51]
	s_delay_alu instid0(VALU_DEP_2) | instskip(SKIP_2) | instid1(VALU_DEP_1)
	v_fma_f64 v[42:43], v[26:27], v[18:19], -v[12:13]
	s_wait_loadcnt 0x0
	v_mul_f64_e32 v[12:13], v[28:29], v[24:25]
	v_fma_f64 v[78:79], v[14:15], v[22:23], v[12:13]
	v_mul_f64_e32 v[12:13], v[14:15], v[24:25]
	s_delay_alu instid0(VALU_DEP_2) | instskip(NEXT) | instid1(VALU_DEP_2)
	v_add_f64_e32 v[132:133], v[52:53], v[78:79]
	v_fma_f64 v[40:41], v[28:29], v[22:23], -v[12:13]
	s_clause 0x1
	global_load_b128 v[12:15], v[34:35], off offset:160
	global_load_b128 v[18:21], v[34:35], off offset:176
	ds_load_2addr_b64 v[22:25], v121 offset0:118 offset1:152
	s_wait_loadcnt_dscnt 0x100
	v_mul_f64_e32 v[26:27], v[22:23], v[14:15]
	s_delay_alu instid0(VALU_DEP_1) | instskip(SKIP_1) | instid1(VALU_DEP_1)
	v_fma_f64 v[90:91], v[8:9], v[12:13], v[26:27]
	v_mul_f64_e32 v[8:9], v[8:9], v[14:15]
	v_fma_f64 v[32:33], v[22:23], v[12:13], -v[8:9]
	s_wait_loadcnt 0x0
	v_mul_f64_e32 v[8:9], v[24:25], v[20:21]
	s_delay_alu instid0(VALU_DEP_2) | instskip(NEXT) | instid1(VALU_DEP_2)
	v_add_f64_e64 v[118:119], v[58:59], -v[32:33]
	v_fma_f64 v[98:99], v[10:11], v[18:19], v[8:9]
	v_mul_f64_e32 v[8:9], v[10:11], v[20:21]
	s_delay_alu instid0(VALU_DEP_3) | instskip(NEXT) | instid1(VALU_DEP_2)
	v_mul_f64_e32 v[125:126], s[42:43], v[118:119]
	v_fma_f64 v[36:37], v[24:25], v[18:19], -v[8:9]
	s_clause 0x1
	global_load_b128 v[8:11], v[34:35], off offset:224
	global_load_b128 v[12:15], v[34:35], off offset:240
	ds_load_2addr_b64 v[18:21], v30 offset0:126 offset1:160
	v_add_f64_e64 v[110:111], v[80:81], -v[36:37]
	s_delay_alu instid0(VALU_DEP_1) | instskip(SKIP_4) | instid1(VALU_DEP_2)
	v_mul_f64_e32 v[114:115], s[44:45], v[110:111]
	s_wait_loadcnt 0x1
	v_mul_f64_e32 v[22:23], v[4:5], v[10:11]
	s_wait_dscnt 0x0
	v_mul_f64_e32 v[10:11], v[18:19], v[10:11]
	v_fma_f64 v[30:31], v[18:19], v[8:9], -v[22:23]
	s_delay_alu instid0(VALU_DEP_2) | instskip(SKIP_2) | instid1(VALU_DEP_1)
	v_fma_f64 v[100:101], v[4:5], v[8:9], v[10:11]
	s_wait_loadcnt 0x0
	v_mul_f64_e32 v[4:5], v[6:7], v[14:15]
	v_fma_f64 v[28:29], v[20:21], v[12:13], -v[4:5]
	v_mul_f64_e32 v[4:5], v[20:21], v[14:15]
	s_delay_alu instid0(VALU_DEP_1)
	v_fma_f64 v[102:103], v[6:7], v[12:13], v[4:5]
	s_clause 0x1
	global_load_b128 v[4:7], v[34:35], off offset:192
	global_load_b128 v[8:11], v[34:35], off offset:208
	ds_load_2addr_b64 v[12:15], v121 offset0:186 offset1:220
	s_wait_loadcnt_dscnt 0x100
	v_mul_f64_e32 v[18:19], v[12:13], v[6:7]
	s_delay_alu instid0(VALU_DEP_1) | instskip(SKIP_1) | instid1(VALU_DEP_1)
	v_fma_f64 v[104:105], v[0:1], v[4:5], v[18:19]
	v_mul_f64_e32 v[0:1], v[0:1], v[6:7]
	v_fma_f64 v[38:39], v[12:13], v[4:5], -v[0:1]
	s_wait_loadcnt 0x0
	v_mul_f64_e32 v[0:1], v[14:15], v[10:11]
	v_add_f64_e64 v[4:5], v[94:95], -v[28:29]
	s_delay_alu instid0(VALU_DEP_2) | instskip(SKIP_1) | instid1(VALU_DEP_3)
	v_fma_f64 v[106:107], v[2:3], v[8:9], v[0:1]
	v_mul_f64_e32 v[0:1], v[2:3], v[10:11]
	v_mul_f64_e32 v[10:11], s[12:13], v[4:5]
	s_delay_alu instid0(VALU_DEP_2) | instskip(SKIP_2) | instid1(VALU_DEP_2)
	v_fma_f64 v[34:35], v[14:15], v[8:9], -v[0:1]
	v_add_f64_e32 v[0:1], v[54:55], v[102:103]
	v_add_f64_e64 v[8:9], v[96:97], -v[30:31]
	v_fma_f64 v[2:3], v[0:1], s[30:31], v[10:11]
	s_delay_alu instid0(VALU_DEP_2)
	v_mul_f64_e32 v[14:15], s[2:3], v[8:9]
	v_mul_f64_e32 v[20:21], s[14:15], v[8:9]
	;; [unrolled: 1-line block ×5, first 2 shown]
	v_fma_f64 v[10:11], v[0:1], s[30:31], -v[10:11]
	v_add_f64_e32 v[6:7], v[16:17], v[2:3]
	v_add_f64_e32 v[2:3], v[82:83], v[100:101]
	s_delay_alu instid0(VALU_DEP_3) | instskip(NEXT) | instid1(VALU_DEP_2)
	v_add_f64_e32 v[10:11], v[16:17], v[10:11]
	v_fma_f64 v[12:13], v[2:3], s[22:23], v[14:15]
	v_fma_f64 v[18:19], v[2:3], s[28:29], v[20:21]
	;; [unrolled: 1-line block ×5, first 2 shown]
	v_fma_f64 v[14:15], v[2:3], s[22:23], -v[14:15]
	v_add_f64_e32 v[22:23], v[12:13], v[6:7]
	v_mul_f64_e32 v[12:13], s[8:9], v[4:5]
	s_delay_alu instid0(VALU_DEP_3) | instskip(SKIP_1) | instid1(VALU_DEP_3)
	v_add_f64_e32 v[10:11], v[14:15], v[10:11]
	v_fma_f64 v[14:15], v[2:3], s[28:29], -v[20:21]
	v_fma_f64 v[6:7], v[0:1], s[26:27], v[12:13]
	v_fma_f64 v[12:13], v[0:1], s[26:27], -v[12:13]
	s_delay_alu instid0(VALU_DEP_2) | instskip(NEXT) | instid1(VALU_DEP_2)
	v_add_f64_e32 v[6:7], v[16:17], v[6:7]
	v_add_f64_e32 v[12:13], v[16:17], v[12:13]
	s_delay_alu instid0(VALU_DEP_2) | instskip(SKIP_2) | instid1(VALU_DEP_4)
	v_add_f64_e32 v[26:27], v[18:19], v[6:7]
	v_add_f64_e64 v[18:19], v[92:93], -v[34:35]
	v_add_f64_e32 v[6:7], v[84:85], v[106:107]
	v_add_f64_e32 v[12:13], v[14:15], v[12:13]
	s_delay_alu instid0(VALU_DEP_3) | instskip(NEXT) | instid1(VALU_DEP_1)
	v_mul_f64_e32 v[24:25], s[14:15], v[18:19]
	v_fma_f64 v[61:62], v[6:7], s[28:29], v[24:25]
	v_fma_f64 v[14:15], v[6:7], s[28:29], -v[24:25]
	s_delay_alu instid0(VALU_DEP_2) | instskip(SKIP_1) | instid1(VALU_DEP_3)
	v_add_f64_e32 v[63:64], v[61:62], v[22:23]
	v_mul_f64_e32 v[61:62], s[56:57], v[18:19]
	v_add_f64_e32 v[10:11], v[14:15], v[10:11]
	s_delay_alu instid0(VALU_DEP_2) | instskip(SKIP_1) | instid1(VALU_DEP_2)
	v_fma_f64 v[22:23], v[6:7], s[38:39], v[61:62]
	v_fma_f64 v[14:15], v[6:7], s[38:39], -v[61:62]
	v_add_f64_e32 v[108:109], v[22:23], v[26:27]
	v_add_f64_e64 v[26:27], v[88:89], -v[38:39]
	v_add_f64_e32 v[22:23], v[86:87], v[104:105]
	s_delay_alu instid0(VALU_DEP_4) | instskip(NEXT) | instid1(VALU_DEP_3)
	v_add_f64_e32 v[12:13], v[14:15], v[12:13]
	v_mul_f64_e32 v[65:66], s[20:21], v[26:27]
	s_delay_alu instid0(VALU_DEP_1) | instskip(SKIP_1) | instid1(VALU_DEP_2)
	v_fma_f64 v[74:75], v[22:23], s[38:39], v[65:66]
	v_fma_f64 v[14:15], v[22:23], s[38:39], -v[65:66]
	v_add_f64_e32 v[112:113], v[74:75], v[63:64]
	v_mul_f64_e32 v[74:75], s[42:43], v[26:27]
	s_delay_alu instid0(VALU_DEP_3) | instskip(NEXT) | instid1(VALU_DEP_2)
	v_add_f64_e32 v[10:11], v[14:15], v[10:11]
	v_fma_f64 v[63:64], v[22:23], s[24:25], v[74:75]
	v_fma_f64 v[14:15], v[22:23], s[24:25], -v[74:75]
	s_delay_alu instid0(VALU_DEP_2) | instskip(SKIP_1) | instid1(VALU_DEP_3)
	v_add_f64_e32 v[108:109], v[63:64], v[108:109]
	v_add_f64_e32 v[63:64], v[76:77], v[98:99]
	;; [unrolled: 1-line block ×3, first 2 shown]
	s_delay_alu instid0(VALU_DEP_2) | instskip(SKIP_1) | instid1(VALU_DEP_2)
	v_fma_f64 v[116:117], v[63:64], s[36:37], v[114:115]
	v_fma_f64 v[14:15], v[63:64], s[36:37], -v[114:115]
	v_add_f64_e32 v[123:124], v[116:117], v[112:113]
	v_mul_f64_e32 v[116:117], s[48:49], v[110:111]
	s_delay_alu instid0(VALU_DEP_3) | instskip(NEXT) | instid1(VALU_DEP_2)
	v_add_f64_e32 v[10:11], v[14:15], v[10:11]
	v_fma_f64 v[112:113], v[63:64], s[30:31], v[116:117]
	v_fma_f64 v[14:15], v[63:64], s[30:31], -v[116:117]
	s_delay_alu instid0(VALU_DEP_2) | instskip(SKIP_1) | instid1(VALU_DEP_3)
	v_add_f64_e32 v[108:109], v[112:113], v[108:109]
	v_add_f64_e32 v[112:113], v[56:57], v[90:91]
	;; [unrolled: 1-line block ×3, first 2 shown]
	s_delay_alu instid0(VALU_DEP_2) | instskip(SKIP_1) | instid1(VALU_DEP_2)
	v_fma_f64 v[128:129], v[112:113], s[24:25], v[125:126]
	v_fma_f64 v[14:15], v[112:113], s[24:25], -v[125:126]
	v_add_f64_e32 v[123:124], v[128:129], v[123:124]
	v_mul_f64_e32 v[128:129], s[16:17], v[118:119]
	s_delay_alu instid0(VALU_DEP_3) | instskip(NEXT) | instid1(VALU_DEP_2)
	v_add_f64_e32 v[10:11], v[14:15], v[10:11]
	v_fma_f64 v[130:131], v[112:113], s[34:35], v[128:129]
	v_fma_f64 v[14:15], v[112:113], s[34:35], -v[128:129]
	s_delay_alu instid0(VALU_DEP_2) | instskip(SKIP_1) | instid1(VALU_DEP_3)
	v_add_f64_e32 v[108:109], v[130:131], v[108:109]
	v_add_f64_e64 v[130:131], v[46:47], -v[40:41]
	v_add_f64_e32 v[12:13], v[14:15], v[12:13]
	s_delay_alu instid0(VALU_DEP_2) | instskip(NEXT) | instid1(VALU_DEP_1)
	v_mul_f64_e32 v[134:135], s[46:47], v[130:131]
	v_fma_f64 v[136:137], v[132:133], s[26:27], v[134:135]
	v_fma_f64 v[14:15], v[132:133], s[26:27], -v[134:135]
	s_delay_alu instid0(VALU_DEP_2) | instskip(SKIP_1) | instid1(VALU_DEP_3)
	v_add_f64_e32 v[123:124], v[136:137], v[123:124]
	v_mul_f64_e32 v[136:137], s[2:3], v[130:131]
	v_add_f64_e32 v[10:11], v[14:15], v[10:11]
	s_delay_alu instid0(VALU_DEP_2) | instskip(SKIP_1) | instid1(VALU_DEP_2)
	v_fma_f64 v[140:141], v[132:133], s[22:23], v[136:137]
	v_fma_f64 v[14:15], v[132:133], s[22:23], -v[136:137]
	v_add_f64_e32 v[108:109], v[140:141], v[108:109]
	v_add_f64_e64 v[140:141], v[44:45], -v[42:43]
	s_delay_alu instid0(VALU_DEP_3) | instskip(NEXT) | instid1(VALU_DEP_2)
	v_add_f64_e32 v[12:13], v[14:15], v[12:13]
	v_mul_f64_e32 v[144:145], s[50:51], v[140:141]
	v_mul_f64_e32 v[148:149], s[18:19], v[140:141]
	s_delay_alu instid0(VALU_DEP_2) | instskip(SKIP_1) | instid1(VALU_DEP_2)
	v_fma_f64 v[146:147], v[142:143], s[34:35], v[144:145]
	v_fma_f64 v[14:15], v[142:143], s[34:35], -v[144:145]
	v_add_f64_e32 v[146:147], v[146:147], v[123:124]
	s_delay_alu instid0(VALU_DEP_4) | instskip(NEXT) | instid1(VALU_DEP_3)
	v_fma_f64 v[123:124], v[142:143], s[36:37], v[148:149]
	v_add_f64_e32 v[10:11], v[14:15], v[10:11]
	v_fma_f64 v[14:15], v[142:143], s[36:37], -v[148:149]
	s_delay_alu instid0(VALU_DEP_3) | instskip(SKIP_2) | instid1(VALU_DEP_3)
	v_add_f64_e32 v[150:151], v[123:124], v[108:109]
	s_wait_alu 0xf1ff
	v_cndmask_b32_e64 v108, 0, 0x908, s1
	v_add_f64_e32 v[12:13], v[14:15], v[12:13]
	s_delay_alu instid0(VALU_DEP_2) | instskip(NEXT) | instid1(VALU_DEP_1)
	v_add_nc_u32_e32 v108, 0, v108
	v_add3_u32 v123, v108, v67, v127
	ds_load_b64 v[108:109], v120
	global_wb scope:SCOPE_SE
	s_wait_dscnt 0x0
	s_barrier_signal -1
	s_barrier_wait -1
	global_inv scope:SCOPE_SE
	ds_store_2addr_b64 v123, v[146:147], v[150:151] offset0:34 offset1:51
	v_mul_f64_e32 v[146:147], s[2:3], v[4:5]
	ds_store_2addr_b64 v123, v[12:13], v[10:11] offset0:238 offset1:255
	v_fma_f64 v[150:151], v[0:1], s[22:23], v[146:147]
	v_fma_f64 v[146:147], v[0:1], s[22:23], -v[146:147]
	s_delay_alu instid0(VALU_DEP_2) | instskip(NEXT) | instid1(VALU_DEP_2)
	v_add_f64_e32 v[150:151], v[16:17], v[150:151]
	v_add_f64_e32 v[146:147], v[16:17], v[146:147]
	s_delay_alu instid0(VALU_DEP_2) | instskip(SKIP_1) | instid1(VALU_DEP_1)
	v_add_f64_e32 v[150:151], v[154:155], v[150:151]
	v_mul_f64_e32 v[154:155], s[6:7], v[4:5]
	v_fma_f64 v[156:157], v[0:1], s[24:25], v[154:155]
	s_delay_alu instid0(VALU_DEP_1) | instskip(NEXT) | instid1(VALU_DEP_1)
	v_add_f64_e32 v[156:157], v[16:17], v[156:157]
	v_add_f64_e32 v[156:157], v[160:161], v[156:157]
	v_mul_f64_e32 v[160:161], s[42:43], v[18:19]
	s_delay_alu instid0(VALU_DEP_1) | instskip(NEXT) | instid1(VALU_DEP_1)
	v_fma_f64 v[162:163], v[6:7], s[24:25], v[160:161]
	v_add_f64_e32 v[150:151], v[162:163], v[150:151]
	v_mul_f64_e32 v[162:163], s[48:49], v[18:19]
	s_delay_alu instid0(VALU_DEP_1) | instskip(NEXT) | instid1(VALU_DEP_1)
	v_fma_f64 v[164:165], v[6:7], s[30:31], v[162:163]
	;; [unrolled: 4-line block ×12, first 2 shown]
	v_add_f64_e32 v[156:157], v[184:185], v[156:157]
	v_mul_f64_e32 v[184:185], s[42:43], v[8:9]
	ds_store_2addr_b64 v123, v[150:151], v[156:157] offset0:68 offset1:85
	v_mul_f64_e32 v[150:151], s[14:15], v[4:5]
	v_fma_f64 v[186:187], v[2:3], s[24:25], v[184:185]
	s_delay_alu instid0(VALU_DEP_2) | instskip(SKIP_1) | instid1(VALU_DEP_2)
	v_fma_f64 v[156:157], v[0:1], s[28:29], v[150:151]
	v_fma_f64 v[150:151], v[0:1], s[28:29], -v[150:151]
	v_add_f64_e32 v[156:157], v[16:17], v[156:157]
	s_delay_alu instid0(VALU_DEP_2) | instskip(NEXT) | instid1(VALU_DEP_2)
	v_add_f64_e32 v[150:151], v[16:17], v[150:151]
	v_add_f64_e32 v[156:157], v[186:187], v[156:157]
	v_mul_f64_e32 v[186:187], s[18:19], v[4:5]
	s_delay_alu instid0(VALU_DEP_1) | instskip(NEXT) | instid1(VALU_DEP_1)
	v_fma_f64 v[188:189], v[0:1], s[36:37], v[186:187]
	v_add_f64_e32 v[188:189], v[16:17], v[188:189]
	s_delay_alu instid0(VALU_DEP_1) | instskip(SKIP_1) | instid1(VALU_DEP_1)
	v_add_f64_e32 v[188:189], v[192:193], v[188:189]
	v_mul_f64_e32 v[192:193], s[16:17], v[18:19]
	v_fma_f64 v[194:195], v[6:7], s[34:35], v[192:193]
	s_delay_alu instid0(VALU_DEP_1) | instskip(SKIP_1) | instid1(VALU_DEP_1)
	v_add_f64_e32 v[156:157], v[194:195], v[156:157]
	v_mul_f64_e32 v[194:195], s[2:3], v[18:19]
	v_fma_f64 v[196:197], v[6:7], s[22:23], v[194:195]
	;; [unrolled: 4-line block ×12, first 2 shown]
	s_delay_alu instid0(VALU_DEP_1)
	v_add_f64_e32 v[188:189], v[216:217], v[188:189]
	v_mul_f64_e32 v[216:217], s[50:51], v[8:9]
	v_mul_f64_e32 v[8:9], s[12:13], v[8:9]
	ds_store_2addr_b64 v123, v[156:157], v[188:189] offset0:102 offset1:119
	v_mul_f64_e32 v[156:157], s[20:21], v[4:5]
	v_fma_f64 v[218:219], v[2:3], s[34:35], v[216:217]
	v_fma_f64 v[216:217], v[2:3], s[34:35], -v[216:217]
	v_mul_f64_e32 v[4:5], s[16:17], v[4:5]
	v_fma_f64 v[12:13], v[2:3], s[30:31], v[8:9]
	v_fma_f64 v[188:189], v[0:1], s[38:39], v[156:157]
	v_fma_f64 v[156:157], v[0:1], s[38:39], -v[156:157]
	s_delay_alu instid0(VALU_DEP_4) | instskip(NEXT) | instid1(VALU_DEP_3)
	v_fma_f64 v[10:11], v[0:1], s[34:35], v[4:5]
	v_add_f64_e32 v[188:189], v[16:17], v[188:189]
	s_delay_alu instid0(VALU_DEP_3) | instskip(NEXT) | instid1(VALU_DEP_3)
	v_add_f64_e32 v[156:157], v[16:17], v[156:157]
	v_add_f64_e32 v[10:11], v[16:17], v[10:11]
	s_delay_alu instid0(VALU_DEP_3) | instskip(NEXT) | instid1(VALU_DEP_3)
	v_add_f64_e32 v[188:189], v[218:219], v[188:189]
	v_add_f64_e32 v[156:157], v[216:217], v[156:157]
	v_mul_f64_e32 v[216:217], s[18:19], v[18:19]
	s_delay_alu instid0(VALU_DEP_4) | instskip(SKIP_1) | instid1(VALU_DEP_3)
	v_add_f64_e32 v[10:11], v[12:13], v[10:11]
	v_mul_f64_e32 v[12:13], s[8:9], v[18:19]
	v_fma_f64 v[218:219], v[6:7], s[36:37], v[216:217]
	v_fma_f64 v[216:217], v[6:7], s[36:37], -v[216:217]
	s_delay_alu instid0(VALU_DEP_3) | instskip(NEXT) | instid1(VALU_DEP_3)
	v_fma_f64 v[14:15], v[6:7], s[26:27], v[12:13]
	v_add_f64_e32 v[188:189], v[218:219], v[188:189]
	s_delay_alu instid0(VALU_DEP_3) | instskip(SKIP_1) | instid1(VALU_DEP_4)
	v_add_f64_e32 v[156:157], v[216:217], v[156:157]
	v_mul_f64_e32 v[216:217], s[48:49], v[26:27]
	v_add_f64_e32 v[10:11], v[14:15], v[10:11]
	v_mul_f64_e32 v[14:15], s[2:3], v[26:27]
	s_delay_alu instid0(VALU_DEP_3) | instskip(SKIP_1) | instid1(VALU_DEP_3)
	v_fma_f64 v[218:219], v[22:23], s[30:31], v[216:217]
	v_fma_f64 v[216:217], v[22:23], s[30:31], -v[216:217]
	v_fma_f64 v[18:19], v[22:23], s[22:23], v[14:15]
	s_delay_alu instid0(VALU_DEP_3) | instskip(NEXT) | instid1(VALU_DEP_3)
	v_add_f64_e32 v[188:189], v[218:219], v[188:189]
	v_add_f64_e32 v[156:157], v[216:217], v[156:157]
	v_mul_f64_e32 v[216:217], s[14:15], v[110:111]
	s_delay_alu instid0(VALU_DEP_4) | instskip(SKIP_1) | instid1(VALU_DEP_3)
	v_add_f64_e32 v[10:11], v[18:19], v[10:11]
	v_mul_f64_e32 v[18:19], s[6:7], v[110:111]
	v_fma_f64 v[218:219], v[63:64], s[28:29], v[216:217]
	v_fma_f64 v[216:217], v[63:64], s[28:29], -v[216:217]
	s_delay_alu instid0(VALU_DEP_3) | instskip(NEXT) | instid1(VALU_DEP_3)
	v_fma_f64 v[20:21], v[63:64], s[24:25], v[18:19]
	v_add_f64_e32 v[188:189], v[218:219], v[188:189]
	s_delay_alu instid0(VALU_DEP_3) | instskip(SKIP_1) | instid1(VALU_DEP_4)
	v_add_f64_e32 v[156:157], v[216:217], v[156:157]
	v_mul_f64_e32 v[216:217], s[46:47], v[118:119]
	v_add_f64_e32 v[10:11], v[20:21], v[10:11]
	v_mul_f64_e32 v[20:21], s[14:15], v[118:119]
	s_delay_alu instid0(VALU_DEP_3) | instskip(SKIP_1) | instid1(VALU_DEP_3)
	v_fma_f64 v[218:219], v[112:113], s[26:27], v[216:217]
	v_fma_f64 v[216:217], v[112:113], s[26:27], -v[216:217]
	v_fma_f64 v[24:25], v[112:113], s[28:29], v[20:21]
	;; [unrolled: 21-line block ×3, first 2 shown]
	s_delay_alu instid0(VALU_DEP_3) | instskip(NEXT) | instid1(VALU_DEP_3)
	v_add_f64_e32 v[188:189], v[218:219], v[188:189]
	v_add_f64_e32 v[156:157], v[216:217], v[156:157]
	s_delay_alu instid0(VALU_DEP_3)
	v_add_f64_e32 v[10:11], v[61:62], v[10:11]
	v_add_f64_e32 v[61:62], v[16:17], v[54:55]
	ds_store_2addr_b64 v123, v[188:189], v[156:157] offset0:136 offset1:153
	v_fma_f64 v[156:157], v[2:3], s[24:25], -v[184:185]
	v_fma_f64 v[184:185], v[2:3], s[26:27], -v[190:191]
	v_add_f64_e32 v[61:62], v[61:62], v[82:83]
	s_delay_alu instid0(VALU_DEP_3) | instskip(SKIP_1) | instid1(VALU_DEP_3)
	v_add_f64_e32 v[150:151], v[156:157], v[150:151]
	v_fma_f64 v[156:157], v[0:1], s[36:37], -v[186:187]
	v_add_f64_e32 v[61:62], v[61:62], v[84:85]
	s_delay_alu instid0(VALU_DEP_2) | instskip(NEXT) | instid1(VALU_DEP_2)
	v_add_f64_e32 v[156:157], v[16:17], v[156:157]
	v_add_f64_e32 v[61:62], v[61:62], v[86:87]
	s_delay_alu instid0(VALU_DEP_2) | instskip(SKIP_1) | instid1(VALU_DEP_3)
	v_add_f64_e32 v[156:157], v[184:185], v[156:157]
	v_fma_f64 v[184:185], v[6:7], s[34:35], -v[192:193]
	v_add_f64_e32 v[61:62], v[61:62], v[76:77]
	s_delay_alu instid0(VALU_DEP_2) | instskip(SKIP_1) | instid1(VALU_DEP_3)
	v_add_f64_e32 v[150:151], v[184:185], v[150:151]
	v_fma_f64 v[184:185], v[6:7], s[22:23], -v[194:195]
	;; [unrolled: 4-line block ×12, first 2 shown]
	v_add_f64_e32 v[61:62], v[61:62], v[102:103]
	s_delay_alu instid0(VALU_DEP_2)
	v_add_f64_e32 v[156:157], v[184:185], v[156:157]
	ds_store_2addr_b64 v123, v[61:62], v[10:11] offset1:17
	ds_store_2addr_b64 v123, v[156:157], v[150:151] offset0:170 offset1:187
	v_fma_f64 v[150:151], v[2:3], s[38:39], -v[152:153]
	v_fma_f64 v[152:153], v[2:3], s[36:37], -v[158:159]
	v_fma_f64 v[2:3], v[2:3], s[30:31], -v[8:9]
	s_delay_alu instid0(VALU_DEP_3) | instskip(SKIP_3) | instid1(VALU_DEP_3)
	v_add_f64_e32 v[146:147], v[150:151], v[146:147]
	v_fma_f64 v[150:151], v[0:1], s[24:25], -v[154:155]
	v_fma_f64 v[0:1], v[0:1], s[34:35], -v[4:5]
	;; [unrolled: 1-line block ×3, first 2 shown]
	v_add_f64_e32 v[150:151], v[16:17], v[150:151]
	s_delay_alu instid0(VALU_DEP_3) | instskip(NEXT) | instid1(VALU_DEP_2)
	v_add_f64_e32 v[0:1], v[16:17], v[0:1]
	v_add_f64_e32 v[150:151], v[152:153], v[150:151]
	v_fma_f64 v[152:153], v[6:7], s[24:25], -v[160:161]
	s_delay_alu instid0(VALU_DEP_3) | instskip(SKIP_1) | instid1(VALU_DEP_3)
	v_add_f64_e32 v[0:1], v[2:3], v[0:1]
	v_fma_f64 v[2:3], v[22:23], s[22:23], -v[14:15]
	v_add_f64_e32 v[146:147], v[152:153], v[146:147]
	v_fma_f64 v[152:153], v[6:7], s[30:31], -v[162:163]
	s_delay_alu instid0(VALU_DEP_4) | instskip(SKIP_1) | instid1(VALU_DEP_3)
	v_add_f64_e32 v[0:1], v[4:5], v[0:1]
	v_fma_f64 v[4:5], v[63:64], s[24:25], -v[18:19]
	v_add_f64_e32 v[150:151], v[152:153], v[150:151]
	v_fma_f64 v[152:153], v[22:23], s[34:35], -v[164:165]
	s_delay_alu instid0(VALU_DEP_4) | instskip(SKIP_1) | instid1(VALU_DEP_3)
	;; [unrolled: 5-line block ×4, first 2 shown]
	v_add_f64_e32 v[0:1], v[2:3], v[0:1]
	v_fma_f64 v[2:3], v[142:143], s[38:39], -v[26:27]
	v_add_f64_e32 v[146:147], v[152:153], v[146:147]
	v_fma_f64 v[152:153], v[63:64], s[38:39], -v[170:171]
	s_delay_alu instid0(VALU_DEP_4) | instskip(NEXT) | instid1(VALU_DEP_2)
	v_add_f64_e32 v[0:1], v[4:5], v[0:1]
                                        ; implicit-def: $vgpr64_vgpr65
	v_add_f64_e32 v[150:151], v[152:153], v[150:151]
	v_fma_f64 v[152:153], v[112:113], s[36:37], -v[172:173]
	s_delay_alu instid0(VALU_DEP_3) | instskip(NEXT) | instid1(VALU_DEP_2)
	v_add_f64_e32 v[62:63], v[2:3], v[0:1]
	v_add_f64_e32 v[146:147], v[152:153], v[146:147]
	v_fma_f64 v[152:153], v[112:113], s[22:23], -v[174:175]
	ds_store_b64 v123, v[62:63] offset:2176
	v_add_f64_e32 v[150:151], v[152:153], v[150:151]
	v_fma_f64 v[152:153], v[132:133], s[28:29], -v[176:177]
	s_delay_alu instid0(VALU_DEP_1) | instskip(SKIP_1) | instid1(VALU_DEP_1)
	v_add_f64_e32 v[146:147], v[152:153], v[146:147]
	v_fma_f64 v[152:153], v[132:133], s[34:35], -v[178:179]
	v_add_f64_e32 v[150:151], v[152:153], v[150:151]
	v_fma_f64 v[152:153], v[142:143], s[30:31], -v[180:181]
	s_delay_alu instid0(VALU_DEP_1) | instskip(SKIP_1) | instid1(VALU_DEP_1)
	v_add_f64_e32 v[146:147], v[152:153], v[146:147]
	v_fma_f64 v[152:153], v[142:143], s[28:29], -v[182:183]
	v_add_f64_e32 v[150:151], v[152:153], v[150:151]
	ds_store_2addr_b64 v123, v[150:151], v[146:147] offset0:204 offset1:221
	global_wb scope:SCOPE_SE
	s_wait_dscnt 0x0
	s_barrier_signal -1
	s_barrier_wait -1
	global_inv scope:SCOPE_SE
	ds_load_b64 v[66:67], v120
	ds_load_b64 v[74:75], v69 offset:4216
	ds_load_2addr_b64 v[12:15], v122 offset0:110 offset1:161
	ds_load_2addr_b64 v[8:11], v69 offset0:34 offset1:68
	;; [unrolled: 1-line block ×7, first 2 shown]
	s_and_saveexec_b32 s1, s0
	s_cbranch_execz .LBB0_14
; %bb.13:
	ds_load_b64 v[62:63], v69 offset:2176
	ds_load_b64 v[64:65], v69 offset:4488
.LBB0_14:
	s_wait_alu 0xfffe
	s_or_b32 exec_lo, exec_lo, s1
	v_add_f64_e32 v[110:111], v[108:109], v[94:95]
	v_add_f64_e32 v[94:95], v[94:95], v[28:29]
	v_add_f64_e64 v[54:55], v[54:55], -v[102:103]
	v_add_f64_e64 v[82:83], v[82:83], -v[100:101]
	;; [unrolled: 1-line block ×7, first 2 shown]
	v_add_f64_e32 v[90:91], v[46:47], v[40:41]
	v_add_f64_e64 v[86:87], v[86:87], -v[104:105]
	v_add_f64_e32 v[104:105], v[44:45], v[42:43]
	global_wb scope:SCOPE_SE
	s_wait_dscnt 0x0
	s_barrier_signal -1
	s_barrier_wait -1
	global_inv scope:SCOPE_SE
	v_add_f64_e32 v[110:111], v[110:111], v[96:97]
	v_add_f64_e32 v[96:97], v[96:97], v[30:31]
	v_mul_f64_e32 v[98:99], s[34:35], v[94:95]
	v_mul_f64_e32 v[100:101], s[30:31], v[94:95]
	;; [unrolled: 1-line block ×8, first 2 shown]
	v_add_f64_e32 v[110:111], v[110:111], v[92:93]
	v_add_f64_e32 v[92:93], v[92:93], v[34:35]
	v_mul_f64_e32 v[114:115], s[30:31], v[96:97]
	v_mul_f64_e32 v[116:117], s[22:23], v[96:97]
	;; [unrolled: 1-line block ×6, first 2 shown]
	v_fma_f64 v[164:165], v[54:55], s[50:51], v[98:99]
	v_fma_f64 v[166:167], v[54:55], s[48:49], v[100:101]
	;; [unrolled: 1-line block ×16, first 2 shown]
	v_add_f64_e32 v[110:111], v[110:111], v[88:89]
	v_add_f64_e32 v[88:89], v[88:89], v[38:39]
	v_mul_f64_e32 v[130:131], s[26:27], v[92:93]
	v_mul_f64_e32 v[132:133], s[28:29], v[92:93]
	;; [unrolled: 1-line block ×8, first 2 shown]
	v_fma_f64 v[186:187], v[82:83], s[48:49], v[114:115]
	v_fma_f64 v[114:115], v[82:83], s[12:13], v[114:115]
	;; [unrolled: 1-line block ×12, first 2 shown]
	v_add_f64_e32 v[100:101], v[108:109], v[100:101]
	v_add_f64_e32 v[102:103], v[108:109], v[102:103]
	;; [unrolled: 1-line block ×10, first 2 shown]
	v_mul_f64_e32 v[146:147], s[22:23], v[88:89]
	v_mul_f64_e32 v[148:149], s[38:39], v[88:89]
	;; [unrolled: 1-line block ×8, first 2 shown]
	v_fma_f64 v[204:205], v[84:85], s[46:47], v[130:131]
	v_fma_f64 v[130:131], v[84:85], s[8:9], v[130:131]
	;; [unrolled: 1-line block ×16, first 2 shown]
	v_add_f64_e32 v[100:101], v[116:117], v[100:101]
	v_add_f64_e32 v[102:103], v[124:125], v[102:103]
	v_add_f64_e32 v[50:51], v[128:129], v[50:51]
	v_add_f64_e32 v[78:79], v[118:119], v[78:79]
	v_add_f64_e32 v[54:55], v[114:115], v[54:55]
	v_mul_f64_e32 v[118:119], s[36:37], v[90:91]
	v_add_f64_e32 v[110:111], v[110:111], v[58:59]
	v_add_f64_e32 v[58:59], v[58:59], v[32:33]
	v_mul_f64_e32 v[160:161], s[24:25], v[80:81]
	v_mul_f64_e32 v[162:163], s[36:37], v[80:81]
	;; [unrolled: 1-line block ×6, first 2 shown]
	v_fma_f64 v[128:129], v[86:87], s[2:3], v[146:147]
	v_add_f64_e32 v[102:103], v[136:137], v[102:103]
	v_add_f64_e32 v[50:51], v[144:145], v[50:51]
	;; [unrolled: 1-line block ×4, first 2 shown]
	v_mul_f64_e32 v[130:131], s[28:29], v[90:91]
	v_mul_f64_e32 v[134:135], s[34:35], v[90:91]
	v_add_f64_e32 v[46:47], v[110:111], v[46:47]
	v_mul_f64_e32 v[110:111], s[24:25], v[96:97]
	v_mul_f64_e32 v[96:97], s[34:35], v[96:97]
	;; [unrolled: 1-line block ×4, first 2 shown]
	v_fma_f64 v[144:145], v[76:77], s[6:7], v[160:161]
	v_add_f64_e32 v[54:55], v[128:129], v[54:55]
	v_mul_f64_e32 v[128:129], s[34:35], v[104:105]
	v_add_f64_e32 v[44:45], v[46:47], v[44:45]
	v_fma_f64 v[196:197], v[82:83], s[6:7], v[110:111]
	v_fma_f64 v[110:111], v[82:83], s[42:43], v[110:111]
	;; [unrolled: 1-line block ×4, first 2 shown]
	v_add_f64_e32 v[96:97], v[108:109], v[164:165]
	v_add_f64_e32 v[164:165], v[108:109], v[166:167]
	;; [unrolled: 1-line block ×8, first 2 shown]
	v_mul_f64_e32 v[46:47], s[30:31], v[80:81]
	v_mul_f64_e32 v[108:109], s[24:25], v[58:59]
	v_mul_f64_e32 v[178:179], s[34:35], v[58:59]
	v_add_f64_e32 v[54:55], v[144:145], v[54:55]
	v_add_f64_e32 v[42:43], v[44:45], v[42:43]
	v_mul_f64_e32 v[44:45], s[28:29], v[80:81]
	v_add_f64_e32 v[110:111], v[110:111], v[112:113]
	v_mul_f64_e32 v[80:81], s[28:29], v[58:59]
	v_add_f64_e32 v[82:83], v[82:83], v[94:95]
	v_add_f64_e32 v[92:93], v[186:187], v[96:97]
	;; [unrolled: 1-line block ×10, first 2 shown]
	v_fma_f64 v[126:127], v[86:87], s[54:55], v[146:147]
	v_fma_f64 v[146:147], v[86:87], s[56:57], v[148:149]
	;; [unrolled: 1-line block ×15, first 2 shown]
	v_mul_f64_e32 v[106:107], s[30:31], v[58:59]
	v_fma_f64 v[190:191], v[76:77], s[2:3], v[182:183]
	v_fma_f64 v[182:183], v[76:77], s[54:55], v[182:183]
	;; [unrolled: 1-line block ×4, first 2 shown]
	v_add_f64_e32 v[40:41], v[42:43], v[40:41]
	v_mul_f64_e32 v[42:43], s[22:23], v[58:59]
	v_add_f64_e32 v[110:111], v[142:143], v[110:111]
	v_mul_f64_e32 v[58:59], s[26:27], v[58:59]
	v_add_f64_e32 v[82:83], v[84:85], v[82:83]
	v_add_f64_e32 v[88:89], v[204:205], v[92:93]
	;; [unrolled: 1-line block ×11, first 2 shown]
	v_fma_f64 v[142:143], v[76:77], s[42:43], v[160:161]
	v_fma_f64 v[160:161], v[76:77], s[18:19], v[162:163]
	;; [unrolled: 1-line block ×11, first 2 shown]
	v_add_f64_e32 v[102:103], v[152:153], v[102:103]
	v_add_f64_e32 v[50:51], v[158:159], v[50:51]
	;; [unrolled: 1-line block ×3, first 2 shown]
	v_mul_f64_e32 v[94:95], s[22:23], v[90:91]
	v_mul_f64_e32 v[140:141], s[38:39], v[90:91]
	v_fma_f64 v[150:151], v[56:57], s[16:17], v[178:179]
	v_fma_f64 v[152:153], v[56:57], s[44:45], v[202:203]
	;; [unrolled: 1-line block ×4, first 2 shown]
	v_add_f64_e32 v[32:33], v[40:41], v[32:33]
	v_mul_f64_e32 v[40:41], s[26:27], v[90:91]
	v_add_f64_e32 v[110:111], v[156:157], v[110:111]
	v_fma_f64 v[156:157], v[56:57], s[2:3], v[42:43]
	v_add_f64_e32 v[82:83], v[86:87], v[82:83]
	v_add_f64_e32 v[76:77], v[126:127], v[88:89]
	;; [unrolled: 1-line block ×11, first 2 shown]
	v_mul_f64_e32 v[86:87], s[24:25], v[90:91]
	v_fma_f64 v[136:137], v[56:57], s[52:53], v[80:81]
	v_fma_f64 v[80:81], v[56:57], s[14:15], v[80:81]
	;; [unrolled: 1-line block ×11, first 2 shown]
	v_add_f64_e32 v[98:99], v[98:99], v[102:103]
	v_add_f64_e32 v[50:51], v[184:185], v[50:51]
	;; [unrolled: 1-line block ×3, first 2 shown]
	v_mul_f64_e32 v[132:133], s[36:37], v[104:105]
	v_fma_f64 v[144:145], v[52:53], s[54:55], v[94:95]
	v_fma_f64 v[94:95], v[52:53], s[2:3], v[94:95]
	v_mul_f64_e32 v[78:79], s[28:29], v[104:105]
	v_add_f64_e32 v[32:33], v[32:33], v[36:37]
	v_mul_f64_e32 v[36:37], s[30:31], v[90:91]
	v_add_f64_e32 v[110:111], v[182:183], v[110:111]
	;; [unrolled: 2-line block ×3, first 2 shown]
	v_add_f64_e32 v[58:59], v[142:143], v[76:77]
	v_add_f64_e32 v[76:77], v[160:161], v[88:89]
	;; [unrolled: 1-line block ×10, first 2 shown]
	v_fma_f64 v[126:127], v[52:53], s[44:45], v[118:119]
	v_fma_f64 v[118:119], v[52:53], s[18:19], v[118:119]
	;; [unrolled: 1-line block ×11, first 2 shown]
	v_mul_f64_e32 v[84:85], s[26:27], v[104:105]
	v_mul_f64_e32 v[124:125], s[24:25], v[104:105]
	v_add_f64_e32 v[50:51], v[114:115], v[50:51]
	v_add_f64_e32 v[46:47], v[150:151], v[46:47]
	;; [unrolled: 1-line block ×3, first 2 shown]
	v_fma_f64 v[80:81], v[48:49], s[16:17], v[128:129]
	v_fma_f64 v[114:115], v[48:49], s[52:53], v[78:79]
	;; [unrolled: 1-line block ×3, first 2 shown]
	v_add_f64_e32 v[32:33], v[32:33], v[38:39]
	v_fma_f64 v[166:167], v[52:53], s[12:13], v[36:37]
	v_fma_f64 v[36:37], v[52:53], s[48:49], v[36:37]
	v_fma_f64 v[52:53], v[52:53], s[6:7], v[86:87]
	v_mul_f64_e32 v[38:39], s[30:31], v[104:105]
	v_add_f64_e32 v[58:59], v[136:137], v[58:59]
	v_add_f64_e32 v[76:77], v[146:147], v[76:77]
	;; [unrolled: 1-line block ×10, first 2 shown]
	v_mul_f64_e32 v[104:105], s[22:23], v[104:105]
	v_add_f64_e32 v[108:109], v[172:173], v[116:117]
	v_add_f64_e32 v[44:45], v[56:57], v[44:45]
	v_add_f64_e32 v[42:43], v[42:43], v[82:83]
	v_fma_f64 v[56:57], v[48:49], s[20:21], v[90:91]
	v_fma_f64 v[82:83], v[48:49], s[50:51], v[128:129]
	;; [unrolled: 1-line block ×7, first 2 shown]
	v_add_f64_e32 v[46:47], v[94:95], v[46:47]
	v_add_f64_e32 v[32:33], v[32:33], v[34:35]
	v_fma_f64 v[34:35], v[48:49], s[56:57], v[90:91]
	v_fma_f64 v[90:91], v[48:49], s[44:45], v[132:133]
	v_add_f64_e32 v[36:37], v[36:37], v[50:51]
	v_fma_f64 v[112:113], v[48:49], s[12:13], v[38:39]
	v_add_f64_e32 v[58:59], v[126:127], v[58:59]
	v_add_f64_e32 v[76:77], v[142:143], v[76:77]
	;; [unrolled: 1-line block ×10, first 2 shown]
	v_fma_f64 v[38:39], v[48:49], s[48:49], v[38:39]
	v_fma_f64 v[132:133], v[48:49], s[2:3], v[104:105]
	;; [unrolled: 1-line block ×3, first 2 shown]
	v_add_f64_e32 v[104:105], v[168:169], v[108:109]
	v_add_f64_e32 v[44:45], v[52:53], v[44:45]
	;; [unrolled: 1-line block ×21, first 2 shown]
                                        ; implicit-def: $vgpr78_vgpr79
	v_add_f64_e32 v[28:29], v[30:31], v[28:29]
	ds_store_2addr_b64 v123, v[34:35], v[52:53] offset0:34 offset1:51
	ds_store_2addr_b64 v123, v[54:55], v[58:59] offset0:68 offset1:85
	;; [unrolled: 1-line block ×7, first 2 shown]
	ds_store_b64 v123, v[76:77] offset:2176
	ds_store_2addr_b64 v123, v[28:29], v[32:33] offset1:17
	global_wb scope:SCOPE_SE
	s_wait_dscnt 0x0
	s_barrier_signal -1
	s_barrier_wait -1
	global_inv scope:SCOPE_SE
	ds_load_2addr_b64 v[40:43], v122 offset0:110 offset1:161
	ds_load_2addr_b64 v[36:39], v69 offset0:34 offset1:68
	;; [unrolled: 1-line block ×7, first 2 shown]
	ds_load_b64 v[80:81], v120
	ds_load_b64 v[82:83], v69 offset:4216
	s_and_saveexec_b32 s1, s0
	s_cbranch_execz .LBB0_16
; %bb.15:
	ds_load_b64 v[76:77], v69 offset:2176
	ds_load_b64 v[78:79], v69 offset:4488
	v_add_nc_u32_e32 v60, 0x110, v68
.LBB0_16:
	s_wait_alu 0xfffe
	s_or_b32 exec_lo, exec_lo, s1
	s_and_saveexec_b32 s0, vcc_lo
	s_cbranch_execz .LBB0_19
; %bb.17:
	v_dual_mov_b32 v69, 0 :: v_dual_add_nc_u32 v116, 0x44, v139
	v_add_nc_u32_e32 v117, 0x66, v139
	v_add_nc_u32_e32 v118, 0x88, v139
	v_mul_lo_u32 v61, s41, v72
	s_delay_alu instid0(VALU_DEP_4)
	v_lshlrev_b64_e32 v[56:57], 4, v[68:69]
	v_mul_lo_u32 v68, s40, v73
	v_mad_co_u64_u32 v[72:73], null, s40, v72, 0
	v_mul_hi_u32 v114, 0xe2c4a689, v139
	v_add_nc_u32_e32 v115, 34, v139
	v_add_co_u32 v108, vcc_lo, s4, v56
	s_wait_alu 0xfffd
	v_add_co_ci_u32_e32 v109, vcc_lo, s5, v57, vcc_lo
	v_mul_hi_u32 v120, 0xe2c4a689, v116
	v_mul_hi_u32 v121, 0xe2c4a689, v117
	;; [unrolled: 1-line block ×3, first 2 shown]
	s_clause 0x7
	global_load_b128 v[56:59], v[108:109], off offset:8160
	global_load_b128 v[84:87], v[108:109], off offset:7616
	;; [unrolled: 1-line block ×8, first 2 shown]
	v_add_nc_u32_e32 v132, 0xee, v139
	v_mul_hi_u32 v119, 0xe2c4a689, v115
	v_lshlrev_b64_e32 v[112:113], 4, v[70:71]
	v_lshrrev_b32_e32 v71, 8, v114
	v_add3_u32 v73, v73, v68, v61
	v_add_nc_u32_e32 v130, 0xaa, v139
	v_mul_hi_u32 v68, 0xe2c4a689, v132
	v_lshrrev_b32_e32 v134, 8, v120
	v_lshrrev_b32_e32 v136, 8, v121
	;; [unrolled: 1-line block ×3, first 2 shown]
	v_mul_u32_u24_e32 v114, 0x121, v71
	v_lshlrev_b64_e32 v[71:72], 4, v[72:73]
	v_lshrrev_b32_e32 v73, 8, v119
	v_mul_hi_u32 v123, 0xe2c4a689, v130
	v_mul_u32_u24_e32 v119, 0x121, v134
	v_mul_u32_u24_e32 v120, 0x121, v136
	;; [unrolled: 1-line block ×3, first 2 shown]
	v_lshrrev_b32_e32 v140, 8, v68
	v_sub_nc_u32_e32 v68, v139, v114
	v_mul_u32_u24_e32 v114, 0x121, v73
	v_add_co_u32 v142, s0, s10, v71
	s_wait_alu 0xf1fe
	v_add_co_ci_u32_e64 v143, s0, s11, v72, s0
	v_sub_nc_u32_e32 v145, v116, v119
	v_sub_nc_u32_e32 v146, v117, v120
	;; [unrolled: 1-line block ×3, first 2 shown]
	v_lshrrev_b32_e32 v138, 8, v123
	v_lshlrev_b32_e32 v144, 4, v68
	v_sub_nc_u32_e32 v68, v115, v114
	v_add_nc_u32_e32 v131, 0xcc, v139
	v_mul_u32_u24_e32 v141, 0x121, v140
	v_mul_u32_u24_e32 v133, 0x121, v138
	v_add_nc_u32_e32 v70, 0x110, v139
	v_mad_u32_u24 v68, 0x242, v73, v68
	v_mul_hi_u32 v61, 0xe2c4a689, v131
	v_sub_nc_u32_e32 v141, v132, v141
	v_sub_nc_u32_e32 v148, v130, v133
	v_cmp_gt_u32_e32 vcc_lo, 0x121, v70
	s_delay_alu instid0(VALU_DEP_4) | instskip(NEXT) | instid1(VALU_DEP_1)
	v_lshrrev_b32_e32 v61, 8, v61
	v_mul_u32_u24_e32 v135, 0x121, v61
	s_delay_alu instid0(VALU_DEP_1)
	v_sub_nc_u32_e32 v149, v131, v135
	s_wait_loadcnt 0x7
	v_mul_f64_e32 v[71:72], v[74:75], v[58:59]
	s_wait_dscnt 0x0
	v_mul_f64_e32 v[114:115], v[82:83], v[58:59]
	s_wait_loadcnt 0x5
	v_mul_f64_e32 v[118:119], v[24:25], v[90:91]
	v_mul_f64_e32 v[90:91], v[52:53], v[90:91]
	s_wait_loadcnt 0x4
	v_mul_f64_e32 v[120:121], v[14:15], v[94:95]
	;; [unrolled: 3-line block ×3, first 2 shown]
	v_mul_f64_e32 v[98:99], v[48:49], v[98:99]
	v_mul_f64_e32 v[116:117], v[26:27], v[86:87]
	;; [unrolled: 1-line block ×3, first 2 shown]
	s_wait_loadcnt 0x2
	v_mul_f64_e32 v[124:125], v[22:23], v[102:103]
	v_mul_f64_e32 v[102:103], v[50:51], v[102:103]
	s_wait_loadcnt 0x1
	v_mul_f64_e32 v[126:127], v[16:17], v[106:107]
	v_mul_f64_e32 v[106:107], v[44:45], v[106:107]
	;; [unrolled: 3-line block ×3, first 2 shown]
	v_add_co_u32 v58, s0, v142, v112
	s_wait_alu 0xf1ff
	v_add_co_ci_u32_e64 v59, s0, v143, v113, s0
	v_lshlrev_b64_e32 v[112:113], 4, v[68:69]
	v_add_nc_u32_e32 v68, 0x121, v68
	v_add_co_u32 v130, s0, v58, v144
	s_wait_alu 0xf1ff
	v_add_co_ci_u32_e64 v131, s0, 0, v59, s0
	s_delay_alu instid0(VALU_DEP_3) | instskip(SKIP_4) | instid1(VALU_DEP_3)
	v_lshlrev_b64_e32 v[132:133], 4, v[68:69]
	v_mad_u32_u24 v68, 0x242, v134, v145
	v_add_co_u32 v112, s0, v58, v112
	s_wait_alu 0xf1ff
	v_add_co_ci_u32_e64 v113, s0, v59, v113, s0
	v_lshlrev_b64_e32 v[134:135], 4, v[68:69]
	v_add_nc_u32_e32 v68, 0x121, v68
	v_fma_f64 v[71:72], v[82:83], v[56:57], -v[71:72]
	v_fma_f64 v[56:57], v[74:75], v[56:57], v[114:115]
	v_fma_f64 v[73:74], v[52:53], v[88:89], -v[118:119]
	v_fma_f64 v[82:83], v[24:25], v[88:89], v[90:91]
	;; [unrolled: 2-line block ×8, first 2 shown]
	v_add_co_u32 v94, s0, v58, v132
	v_lshlrev_b64_e32 v[14:15], 4, v[68:69]
	v_mad_u32_u24 v68, 0x242, v136, v146
	s_wait_alu 0xf1ff
	v_add_co_ci_u32_e64 v95, s0, v59, v133, s0
	v_add_co_u32 v96, s0, v58, v134
	s_wait_alu 0xf1ff
	v_add_co_ci_u32_e64 v97, s0, v59, v135, s0
	v_lshlrev_b64_e32 v[16:17], 4, v[68:69]
	v_add_co_u32 v98, s0, v58, v14
	s_wait_alu 0xf1ff
	v_add_co_ci_u32_e64 v99, s0, v59, v15, s0
	v_add_nc_u32_e32 v68, 0x121, v68
	s_delay_alu instid0(VALU_DEP_4) | instskip(SKIP_2) | instid1(VALU_DEP_3)
	v_add_co_u32 v102, s0, v58, v16
	s_wait_alu 0xf1ff
	v_add_co_ci_u32_e64 v103, s0, v59, v17, s0
	v_lshlrev_b64_e32 v[100:101], 4, v[68:69]
	v_mad_u32_u24 v68, 0x242, v137, v147
	v_add_f64_e64 v[16:17], v[40:41], -v[71:72]
	v_add_f64_e64 v[14:15], v[12:13], -v[56:57]
	;; [unrolled: 1-line block ×16, first 2 shown]
	v_lshlrev_b64_e32 v[104:105], 4, v[68:69]
	v_add_nc_u32_e32 v68, 0x121, v68
	v_add_co_u32 v100, s0, v58, v100
	s_wait_alu 0xf1ff
	v_add_co_ci_u32_e64 v101, s0, v59, v101, s0
	s_delay_alu instid0(VALU_DEP_3) | instskip(SKIP_4) | instid1(VALU_DEP_3)
	v_lshlrev_b64_e32 v[26:27], 4, v[68:69]
	v_mad_u32_u24 v68, 0x242, v138, v148
	v_add_co_u32 v104, s0, v58, v104
	s_wait_alu 0xf1ff
	v_add_co_ci_u32_e64 v105, s0, v59, v105, s0
	v_lshlrev_b64_e32 v[82:83], 4, v[68:69]
	v_add_co_u32 v106, s0, v58, v26
	s_wait_alu 0xf1ff
	v_add_co_ci_u32_e64 v107, s0, v59, v27, s0
	v_add_nc_u32_e32 v68, 0x121, v68
	s_delay_alu instid0(VALU_DEP_4) | instskip(SKIP_2) | instid1(VALU_DEP_3)
	v_add_co_u32 v110, s0, v58, v82
	s_wait_alu 0xf1ff
	v_add_co_ci_u32_e64 v111, s0, v59, v83, s0
	v_lshlrev_b64_e32 v[108:109], 4, v[68:69]
	v_fma_f64 v[82:83], v[12:13], 2.0, -v[14:15]
	v_mad_u32_u24 v68, 0x242, v61, v149
	v_fma_f64 v[28:29], v[28:29], 2.0, -v[73:74]
	v_fma_f64 v[88:89], v[80:81], 2.0, -v[24:25]
	;; [unrolled: 1-line block ×15, first 2 shown]
	v_lshlrev_b64_e32 v[114:115], 4, v[68:69]
	v_add_nc_u32_e32 v68, 0x121, v68
	v_add_co_u32 v0, s0, v58, v108
	s_wait_alu 0xf1ff
	v_add_co_ci_u32_e64 v1, s0, v59, v109, s0
	s_delay_alu instid0(VALU_DEP_3) | instskip(SKIP_4) | instid1(VALU_DEP_3)
	v_lshlrev_b64_e32 v[30:31], 4, v[68:69]
	v_mad_u32_u24 v68, 0x242, v140, v141
	v_add_co_u32 v32, s0, v58, v114
	s_wait_alu 0xf1ff
	v_add_co_ci_u32_e64 v33, s0, v59, v115, s0
	v_lshlrev_b64_e32 v[34:35], 4, v[68:69]
	v_add_nc_u32_e32 v68, 0x121, v68
	v_add_co_u32 v30, s0, v58, v30
	s_wait_alu 0xf1ff
	v_add_co_ci_u32_e64 v31, s0, v59, v31, s0
	s_delay_alu instid0(VALU_DEP_3) | instskip(SKIP_3) | instid1(VALU_DEP_3)
	v_lshlrev_b64_e32 v[40:41], 4, v[68:69]
	v_add_co_u32 v34, s0, v58, v34
	s_wait_alu 0xf1ff
	v_add_co_ci_u32_e64 v35, s0, v59, v35, s0
	v_add_co_u32 v40, s0, v58, v40
	s_wait_alu 0xf1ff
	v_add_co_ci_u32_e64 v41, s0, v59, v41, s0
	s_clause 0xf
	global_store_b128 v[130:131], v[86:89], off
	global_store_b128 v[130:131], v[22:25], off offset:4624
	global_store_b128 v[112:113], v[90:93], off
	global_store_b128 v[94:95], v[42:45], off
	;; [unrolled: 1-line block ×14, first 2 shown]
	s_and_b32 exec_lo, exec_lo, vcc_lo
	s_cbranch_execz .LBB0_19
; %bb.18:
	v_dual_mov_b32 v61, v69 :: v_dual_add_nc_u32 v68, 0x231, v139
	v_mov_b32_e32 v71, v69
	s_delay_alu instid0(VALU_DEP_2) | instskip(NEXT) | instid1(VALU_DEP_3)
	v_lshlrev_b64_e32 v[0:1], 4, v[60:61]
	v_lshlrev_b64_e32 v[10:11], 4, v[68:69]
	s_delay_alu instid0(VALU_DEP_3) | instskip(NEXT) | instid1(VALU_DEP_3)
	v_lshlrev_b64_e32 v[8:9], 4, v[70:71]
	v_add_co_u32 v0, vcc_lo, s4, v0
	s_wait_alu 0xfffd
	s_delay_alu instid0(VALU_DEP_4) | instskip(NEXT) | instid1(VALU_DEP_3)
	v_add_co_ci_u32_e32 v1, vcc_lo, s5, v1, vcc_lo
	v_add_co_u32 v8, vcc_lo, v58, v8
	s_wait_alu 0xfffd
	v_add_co_ci_u32_e32 v9, vcc_lo, v59, v9, vcc_lo
	global_load_b128 v[0:3], v[0:1], off offset:4352
	v_add_co_u32 v10, vcc_lo, v58, v10
	s_wait_alu 0xfffd
	v_add_co_ci_u32_e32 v11, vcc_lo, v59, v11, vcc_lo
	s_wait_loadcnt 0x0
	v_mul_f64_e32 v[4:5], v[78:79], v[2:3]
	v_mul_f64_e32 v[2:3], v[64:65], v[2:3]
	s_delay_alu instid0(VALU_DEP_2) | instskip(NEXT) | instid1(VALU_DEP_2)
	v_fma_f64 v[4:5], v[64:65], v[0:1], v[4:5]
	v_fma_f64 v[2:3], v[78:79], v[0:1], -v[2:3]
	s_delay_alu instid0(VALU_DEP_2) | instskip(NEXT) | instid1(VALU_DEP_2)
	v_add_f64_e64 v[0:1], v[62:63], -v[4:5]
	v_add_f64_e64 v[2:3], v[76:77], -v[2:3]
	s_delay_alu instid0(VALU_DEP_2) | instskip(NEXT) | instid1(VALU_DEP_2)
	v_fma_f64 v[4:5], v[62:63], 2.0, -v[0:1]
	v_fma_f64 v[6:7], v[76:77], 2.0, -v[2:3]
	s_clause 0x1
	global_store_b128 v[8:9], v[4:7], off
	global_store_b128 v[10:11], v[0:3], off
.LBB0_19:
	s_nop 0
	s_sendmsg sendmsg(MSG_DEALLOC_VGPRS)
	s_endpgm
	.section	.rodata,"a",@progbits
	.p2align	6, 0x0
	.amdhsa_kernel fft_rtc_back_len578_factors_17_17_2_wgs_238_tpt_34_halfLds_dp_op_CI_CI_unitstride_sbrr_dirReg
		.amdhsa_group_segment_fixed_size 0
		.amdhsa_private_segment_fixed_size 0
		.amdhsa_kernarg_size 104
		.amdhsa_user_sgpr_count 2
		.amdhsa_user_sgpr_dispatch_ptr 0
		.amdhsa_user_sgpr_queue_ptr 0
		.amdhsa_user_sgpr_kernarg_segment_ptr 1
		.amdhsa_user_sgpr_dispatch_id 0
		.amdhsa_user_sgpr_private_segment_size 0
		.amdhsa_wavefront_size32 1
		.amdhsa_uses_dynamic_stack 0
		.amdhsa_enable_private_segment 0
		.amdhsa_system_sgpr_workgroup_id_x 1
		.amdhsa_system_sgpr_workgroup_id_y 0
		.amdhsa_system_sgpr_workgroup_id_z 0
		.amdhsa_system_sgpr_workgroup_info 0
		.amdhsa_system_vgpr_workitem_id 0
		.amdhsa_next_free_vgpr 220
		.amdhsa_next_free_sgpr 58
		.amdhsa_reserve_vcc 1
		.amdhsa_float_round_mode_32 0
		.amdhsa_float_round_mode_16_64 0
		.amdhsa_float_denorm_mode_32 3
		.amdhsa_float_denorm_mode_16_64 3
		.amdhsa_fp16_overflow 0
		.amdhsa_workgroup_processor_mode 1
		.amdhsa_memory_ordered 1
		.amdhsa_forward_progress 0
		.amdhsa_round_robin_scheduling 0
		.amdhsa_exception_fp_ieee_invalid_op 0
		.amdhsa_exception_fp_denorm_src 0
		.amdhsa_exception_fp_ieee_div_zero 0
		.amdhsa_exception_fp_ieee_overflow 0
		.amdhsa_exception_fp_ieee_underflow 0
		.amdhsa_exception_fp_ieee_inexact 0
		.amdhsa_exception_int_div_zero 0
	.end_amdhsa_kernel
	.text
.Lfunc_end0:
	.size	fft_rtc_back_len578_factors_17_17_2_wgs_238_tpt_34_halfLds_dp_op_CI_CI_unitstride_sbrr_dirReg, .Lfunc_end0-fft_rtc_back_len578_factors_17_17_2_wgs_238_tpt_34_halfLds_dp_op_CI_CI_unitstride_sbrr_dirReg
                                        ; -- End function
	.section	.AMDGPU.csdata,"",@progbits
; Kernel info:
; codeLenInByte = 14760
; NumSgprs: 60
; NumVgprs: 220
; ScratchSize: 0
; MemoryBound: 1
; FloatMode: 240
; IeeeMode: 1
; LDSByteSize: 0 bytes/workgroup (compile time only)
; SGPRBlocks: 7
; VGPRBlocks: 27
; NumSGPRsForWavesPerEU: 60
; NumVGPRsForWavesPerEU: 220
; Occupancy: 6
; WaveLimiterHint : 1
; COMPUTE_PGM_RSRC2:SCRATCH_EN: 0
; COMPUTE_PGM_RSRC2:USER_SGPR: 2
; COMPUTE_PGM_RSRC2:TRAP_HANDLER: 0
; COMPUTE_PGM_RSRC2:TGID_X_EN: 1
; COMPUTE_PGM_RSRC2:TGID_Y_EN: 0
; COMPUTE_PGM_RSRC2:TGID_Z_EN: 0
; COMPUTE_PGM_RSRC2:TIDIG_COMP_CNT: 0
	.text
	.p2alignl 7, 3214868480
	.fill 96, 4, 3214868480
	.type	__hip_cuid_8624fdadff014f49,@object ; @__hip_cuid_8624fdadff014f49
	.section	.bss,"aw",@nobits
	.globl	__hip_cuid_8624fdadff014f49
__hip_cuid_8624fdadff014f49:
	.byte	0                               ; 0x0
	.size	__hip_cuid_8624fdadff014f49, 1

	.ident	"AMD clang version 19.0.0git (https://github.com/RadeonOpenCompute/llvm-project roc-6.4.0 25133 c7fe45cf4b819c5991fe208aaa96edf142730f1d)"
	.section	".note.GNU-stack","",@progbits
	.addrsig
	.addrsig_sym __hip_cuid_8624fdadff014f49
	.amdgpu_metadata
---
amdhsa.kernels:
  - .args:
      - .actual_access:  read_only
        .address_space:  global
        .offset:         0
        .size:           8
        .value_kind:     global_buffer
      - .offset:         8
        .size:           8
        .value_kind:     by_value
      - .actual_access:  read_only
        .address_space:  global
        .offset:         16
        .size:           8
        .value_kind:     global_buffer
      - .actual_access:  read_only
        .address_space:  global
        .offset:         24
        .size:           8
        .value_kind:     global_buffer
      - .actual_access:  read_only
        .address_space:  global
        .offset:         32
        .size:           8
        .value_kind:     global_buffer
      - .offset:         40
        .size:           8
        .value_kind:     by_value
      - .actual_access:  read_only
        .address_space:  global
        .offset:         48
        .size:           8
        .value_kind:     global_buffer
      - .actual_access:  read_only
        .address_space:  global
        .offset:         56
        .size:           8
        .value_kind:     global_buffer
      - .offset:         64
        .size:           4
        .value_kind:     by_value
      - .actual_access:  read_only
        .address_space:  global
        .offset:         72
        .size:           8
        .value_kind:     global_buffer
      - .actual_access:  read_only
        .address_space:  global
        .offset:         80
        .size:           8
        .value_kind:     global_buffer
      - .actual_access:  read_only
        .address_space:  global
        .offset:         88
        .size:           8
        .value_kind:     global_buffer
      - .actual_access:  write_only
        .address_space:  global
        .offset:         96
        .size:           8
        .value_kind:     global_buffer
    .group_segment_fixed_size: 0
    .kernarg_segment_align: 8
    .kernarg_segment_size: 104
    .language:       OpenCL C
    .language_version:
      - 2
      - 0
    .max_flat_workgroup_size: 238
    .name:           fft_rtc_back_len578_factors_17_17_2_wgs_238_tpt_34_halfLds_dp_op_CI_CI_unitstride_sbrr_dirReg
    .private_segment_fixed_size: 0
    .sgpr_count:     60
    .sgpr_spill_count: 0
    .symbol:         fft_rtc_back_len578_factors_17_17_2_wgs_238_tpt_34_halfLds_dp_op_CI_CI_unitstride_sbrr_dirReg.kd
    .uniform_work_group_size: 1
    .uses_dynamic_stack: false
    .vgpr_count:     220
    .vgpr_spill_count: 0
    .wavefront_size: 32
    .workgroup_processor_mode: 1
amdhsa.target:   amdgcn-amd-amdhsa--gfx1201
amdhsa.version:
  - 1
  - 2
...

	.end_amdgpu_metadata
